;; amdgpu-corpus repo=ROCm/rocFFT kind=compiled arch=gfx950 opt=O3
	.text
	.amdgcn_target "amdgcn-amd-amdhsa--gfx950"
	.amdhsa_code_object_version 6
	.protected	bluestein_single_back_len176_dim1_sp_op_CI_CI ; -- Begin function bluestein_single_back_len176_dim1_sp_op_CI_CI
	.globl	bluestein_single_back_len176_dim1_sp_op_CI_CI
	.p2align	8
	.type	bluestein_single_back_len176_dim1_sp_op_CI_CI,@function
bluestein_single_back_len176_dim1_sp_op_CI_CI: ; @bluestein_single_back_len176_dim1_sp_op_CI_CI
; %bb.0:
	s_load_dwordx4 s[8:11], s[0:1], 0x28
	v_lshrrev_b32_e32 v1, 4, v0
	v_mov_b32_e32 v67, 0
	v_lshl_or_b32 v56, s2, 2, v1
	v_mov_b32_e32 v57, v67
	s_waitcnt lgkmcnt(0)
	v_cmp_gt_u64_e32 vcc, s[8:9], v[56:57]
	s_and_saveexec_b64 s[2:3], vcc
	s_cbranch_execz .LBB0_12
; %bb.1:
	s_load_dwordx4 s[4:7], s[0:1], 0x18
	s_load_dwordx2 s[12:13], s[0:1], 0x0
	v_and_b32_e32 v106, 15, v0
	v_mov_b32_e32 v2, s10
	v_mov_b32_e32 v3, s11
	s_waitcnt lgkmcnt(0)
	s_load_dwordx4 s[16:19], s[4:5], 0x0
	v_lshlrev_b32_e32 v66, 3, v106
	v_mul_u32_u24_e32 v108, 0xb0, v1
	v_lshl_or_b32 v57, v108, 3, v66
	s_mov_b32 s8, 0xbf4178ce
	s_waitcnt lgkmcnt(0)
	v_mad_u64_u32 v[4:5], s[2:3], s18, v56, 0
	v_mad_u64_u32 v[6:7], s[2:3], s16, v106, 0
	v_mov_b32_e32 v0, v5
	v_mad_u64_u32 v[8:9], s[2:3], s19, v56, v[0:1]
	v_mov_b32_e32 v0, v7
	v_mov_b32_e32 v5, v8
	v_mad_u64_u32 v[8:9], s[2:3], s17, v106, v[0:1]
	v_mov_b32_e32 v7, v8
	v_lshl_add_u64 v[2:3], v[4:5], 3, v[2:3]
	v_lshl_add_u64 v[2:3], v[6:7], 3, v[2:3]
	s_lshl_b64 s[2:3], s[16:17], 7
	global_load_dwordx2 v[64:65], v66, s[12:13]
	global_load_dwordx2 v[4:5], v[2:3], off
	v_lshl_add_u64 v[2:3], v[2:3], 0, s[2:3]
	global_load_dwordx2 v[6:7], v[2:3], off
	global_load_dwordx2 v[62:63], v66, s[12:13] offset:128
	v_lshl_add_u64 v[2:3], v[2:3], 0, s[2:3]
	global_load_dwordx2 v[60:61], v66, s[12:13] offset:256
	global_load_dwordx2 v[8:9], v[2:3], off
	v_lshl_add_u64 v[2:3], v[2:3], 0, s[2:3]
	global_load_dwordx2 v[10:11], v[2:3], off
	global_load_dwordx2 v[58:59], v66, s[12:13] offset:384
	v_lshl_add_u64 v[2:3], v[2:3], 0, s[2:3]
	global_load_dwordx2 v[12:13], v[2:3], off
	global_load_dwordx2 v[54:55], v66, s[12:13] offset:512
	;; [unrolled: 3-line block ×4, first 2 shown]
	global_load_dwordx2 v[48:49], v66, s[12:13] offset:896
	v_lshl_add_u64 v[2:3], v[2:3], 0, s[2:3]
	global_load_dwordx2 v[18:19], v[2:3], off
	v_lshl_add_u64 v[2:3], v[2:3], 0, s[2:3]
	global_load_dwordx2 v[20:21], v[2:3], off
	global_load_dwordx2 v[46:47], v66, s[12:13] offset:1024
	v_lshl_add_u64 v[2:3], v[2:3], 0, s[2:3]
	global_load_dwordx2 v[22:23], v[2:3], off
	global_load_dwordx2 v[44:45], v66, s[12:13] offset:1152
	global_load_dwordx2 v[42:43], v66, s[12:13] offset:1280
	v_lshl_add_u64 v[2:3], v[2:3], 0, s[2:3]
	global_load_dwordx2 v[2:3], v[2:3], off
	v_or_b32_e32 v0, v108, v106
	v_lshlrev_b32_e32 v107, 3, v0
	s_load_dwordx4 s[4:7], s[6:7], 0x0
	s_mov_b32 s2, 0xbf27a4f4
	s_mov_b32 s22, 0x3f7d64f0
	;; [unrolled: 1-line block ×16, first 2 shown]
	v_cmp_gt_u32_e32 vcc, 11, v106
	s_waitcnt vmcnt(20)
	v_mul_f32_e32 v0, v5, v65
	v_mul_f32_e32 v1, v4, v65
	v_fmac_f32_e32 v0, v4, v64
	v_fma_f32 v1, v5, v64, -v1
	s_waitcnt vmcnt(18)
	v_mul_f32_e32 v4, v7, v63
	v_mul_f32_e32 v5, v6, v63
	ds_write_b64 v107, v[0:1]
	s_waitcnt vmcnt(16)
	v_mul_f32_e32 v0, v9, v61
	v_mul_f32_e32 v1, v8, v61
	v_fmac_f32_e32 v4, v6, v62
	v_fma_f32 v5, v7, v62, -v5
	v_fmac_f32_e32 v0, v8, v60
	v_fma_f32 v1, v9, v60, -v1
	s_waitcnt vmcnt(14)
	v_mul_f32_e32 v6, v11, v59
	v_mul_f32_e32 v7, v10, v59
	ds_write2_b64 v57, v[4:5], v[0:1] offset0:16 offset1:32
	s_waitcnt vmcnt(12)
	v_mul_f32_e32 v0, v13, v55
	v_mul_f32_e32 v1, v12, v55
	v_fmac_f32_e32 v6, v10, v58
	v_fma_f32 v7, v11, v58, -v7
	v_fmac_f32_e32 v0, v12, v54
	v_fma_f32 v1, v13, v54, -v1
	s_waitcnt vmcnt(10)
	v_mul_f32_e32 v4, v15, v53
	v_mul_f32_e32 v5, v14, v53
	ds_write2_b64 v57, v[6:7], v[0:1] offset0:48 offset1:64
	;; [unrolled: 11-line block ×4, first 2 shown]
	s_waitcnt vmcnt(0)
	v_mul_f32_e32 v0, v3, v43
	v_mul_f32_e32 v1, v2, v43
	v_fmac_f32_e32 v4, v22, v44
	v_fma_f32 v5, v23, v44, -v5
	v_fmac_f32_e32 v0, v2, v42
	v_fma_f32 v1, v3, v42, -v1
	ds_write2_b64 v57, v[4:5], v[0:1] offset0:144 offset1:160
	s_waitcnt lgkmcnt(0)
	; wave barrier
	s_waitcnt lgkmcnt(0)
	ds_read_b64 v[0:1], v107
	ds_read2_b64 v[6:9], v57 offset0:16 offset1:32
	ds_read2_b64 v[14:17], v57 offset0:48 offset1:64
	;; [unrolled: 1-line block ×5, first 2 shown]
	s_waitcnt lgkmcnt(4)
	v_pk_add_f32 v[2:3], v[0:1], v[6:7]
	s_waitcnt lgkmcnt(0)
	v_pk_add_f32 v[2:3], v[2:3], v[8:9]
	; wave barrier
	s_nop 0
	v_pk_add_f32 v[2:3], v[2:3], v[14:15]
	v_pk_add_f32 v[4:5], v[6:7], v[12:13] neg_lo:[0,1] neg_hi:[0,1]
	v_pk_add_f32 v[2:3], v[2:3], v[16:17]
	s_nop 0
	v_pk_add_f32 v[2:3], v[2:3], v[26:27]
	s_nop 0
	;; [unrolled: 2-line block ×6, first 2 shown]
	v_pk_add_f32 v[70:71], v[2:3], v[12:13]
	v_pk_add_f32 v[2:3], v[12:13], v[6:7]
	;; [unrolled: 1-line block ×3, first 2 shown]
	v_pk_add_f32 v[8:9], v[8:9], v[10:11] neg_lo:[0,1] neg_hi:[0,1]
	v_pk_add_f32 v[10:11], v[20:21], v[14:15]
	v_pk_add_f32 v[12:13], v[14:15], v[20:21] neg_lo:[0,1] neg_hi:[0,1]
	v_pk_add_f32 v[14:15], v[18:19], v[16:17]
	v_pk_add_f32 v[16:17], v[16:17], v[18:19] neg_lo:[0,1] neg_hi:[0,1]
	v_pk_mul_f32 v[18:19], v[4:5], s[8:9] op_sel_hi:[1,0]
	v_pk_mul_f32 v[68:69], v[6:7], s[18:19]
	v_pk_fma_f32 v[20:21], v[2:3], s[2:3], v[18:19] op_sel:[0,0,1] op_sel_hi:[1,0,0]
	v_pk_fma_f32 v[18:19], v[2:3], s[2:3], v[18:19] op_sel:[0,0,1] op_sel_hi:[1,0,0] neg_lo:[0,0,1] neg_hi:[0,0,1]
	v_mov_b32_e32 v22, v20
	v_mov_b32_e32 v23, v19
	v_pk_add_f32 v[30:31], v[0:1], v[22:23]
	v_pk_mul_f32 v[22:23], v[8:9], s[22:23] op_sel_hi:[1,0]
	v_pk_fma_f32 v[72:73], v[8:9], s[26:27], v[68:69] op_sel:[0,0,1] op_sel_hi:[1,1,0]
	v_pk_fma_f32 v[24:25], v[6:7], s[10:11], v[22:23] op_sel:[0,0,1] op_sel_hi:[1,0,0]
	v_pk_fma_f32 v[22:23], v[6:7], s[10:11], v[22:23] op_sel:[0,0,1] op_sel_hi:[1,0,0] neg_lo:[0,0,1] neg_hi:[0,0,1]
	v_mov_b32_e32 v32, v24
	v_mov_b32_e32 v33, v23
	v_pk_add_f32 v[30:31], v[32:33], v[30:31]
	v_pk_mul_f32 v[32:33], v[12:13], s[14:15] op_sel_hi:[1,0]
	s_mov_b32 s11, s16
	v_pk_fma_f32 v[34:35], v[10:11], s[16:17], v[32:33] op_sel:[0,0,1] op_sel_hi:[1,0,0]
	v_pk_fma_f32 v[32:33], v[10:11], s[16:17], v[32:33] op_sel:[0,0,1] op_sel_hi:[1,0,0] neg_lo:[0,0,1] neg_hi:[0,0,1]
	v_mov_b32_e32 v36, v34
	v_mov_b32_e32 v37, v33
	v_pk_add_f32 v[30:31], v[36:37], v[30:31]
	v_pk_mul_f32 v[36:37], v[2:3], s[10:11]
	v_pk_fma_f32 v[68:69], v[8:9], s[26:27], v[68:69] op_sel:[0,0,1] op_sel_hi:[1,1,0] neg_lo:[1,0,0] neg_hi:[1,0,0]
	v_pk_fma_f32 v[38:39], v[4:5], s[14:15], v[36:37] op_sel:[0,0,1] op_sel_hi:[1,1,0]
	v_pk_fma_f32 v[36:37], v[4:5], s[14:15], v[36:37] op_sel:[0,0,1] op_sel_hi:[1,1,0] neg_lo:[1,0,0] neg_hi:[1,0,0]
	v_mov_b32_e32 v40, v38
	v_mov_b32_e32 v41, v37
	v_pk_add_f32 v[40:41], v[0:1], v[40:41] op_sel:[1,0] op_sel_hi:[0,1]
	v_mov_b32_e32 v74, v72
	v_mov_b32_e32 v75, v69
	v_pk_add_f32 v[40:41], v[74:75], v[40:41]
	v_pk_mul_f32 v[74:75], v[10:11], s[24:25]
	v_mov_b32_e32 v38, v39
	v_mov_b32_e32 v39, v36
	v_pk_fma_f32 v[76:77], v[12:13], s[20:21], v[74:75] op_sel:[0,0,1] op_sel_hi:[1,1,0]
	v_pk_fma_f32 v[74:75], v[12:13], s[20:21], v[74:75] op_sel:[0,0,1] op_sel_hi:[1,1,0] neg_lo:[1,0,0] neg_hi:[1,0,0]
	v_mov_b32_e32 v36, v73
	v_mov_b32_e32 v37, v68
	v_pk_add_f32 v[38:39], v[0:1], v[38:39]
	s_mov_b32 s17, s2
	v_pk_add_f32 v[36:37], v[36:37], v[38:39]
	v_mov_b32_e32 v38, v77
	v_mov_b32_e32 v39, v74
	v_pk_add_f32 v[38:39], v[38:39], v[36:37]
	s_mov_b32 s9, s14
	v_pk_mul_f32 v[36:37], v[14:15], s[16:17]
	v_mov_b32_e32 v78, v76
	v_mov_b32_e32 v79, v75
	v_pk_fma_f32 v[68:69], v[16:17], s[8:9], v[36:37] op_sel:[0,0,1] op_sel_hi:[1,1,0] neg_lo:[1,0,0] neg_hi:[1,0,0]
	v_pk_fma_f32 v[72:73], v[16:17], s[8:9], v[36:37] op_sel:[0,0,1] op_sel_hi:[1,1,0]
	v_pk_add_f32 v[40:41], v[78:79], v[40:41]
	v_mov_b32_e32 v36, v72
	v_mov_b32_e32 v37, v69
	s_mov_b32 s24, s15
	s_mov_b32 s25, s14
	v_pk_add_f32 v[40:41], v[36:37], v[40:41]
	s_mov_b32 s17, s10
	v_pk_mul_f32 v[36:37], v[4:5], s[24:25]
	s_mov_b32 s24, s19
	v_pk_fma_f32 v[74:75], v[2:3], s[16:17], v[36:37] op_sel:[0,0,1] op_sel_hi:[1,1,0] neg_lo:[0,0,1] neg_hi:[0,0,1]
	v_pk_fma_f32 v[36:37], v[2:3], s[16:17], v[36:37] op_sel:[0,0,1] op_sel_hi:[1,1,0]
	s_mov_b32 s25, s18
	v_pk_mul_f32 v[78:79], v[8:9], s[28:29]
	v_mov_b32_e32 v76, v74
	v_mov_b32_e32 v77, v37
	v_pk_fma_f32 v[80:81], v[6:7], s[24:25], v[78:79] op_sel:[0,0,1] op_sel_hi:[1,1,0] neg_lo:[0,0,1] neg_hi:[0,0,1]
	v_pk_fma_f32 v[78:79], v[6:7], s[24:25], v[78:79] op_sel:[0,0,1] op_sel_hi:[1,1,0]
	v_pk_add_f32 v[76:77], v[0:1], v[76:77]
	v_mov_b32_e32 v82, v80
	v_mov_b32_e32 v83, v79
	s_mov_b32 s24, s21
	s_mov_b32 s25, s15
	v_pk_add_f32 v[76:77], v[82:83], v[76:77]
	s_mov_b32 s11, s19
	v_pk_mul_f32 v[82:83], v[12:13], s[24:25]
	v_mov_b32_e32 v37, v75
	v_pk_fma_f32 v[84:85], v[10:11], s[10:11], v[82:83] op_sel:[0,0,1] op_sel_hi:[1,1,0] neg_lo:[0,0,1] neg_hi:[0,0,1]
	v_pk_fma_f32 v[82:83], v[10:11], s[10:11], v[82:83] op_sel:[0,0,1] op_sel_hi:[1,1,0]
	v_mov_b32_e32 v79, v81
	v_pk_add_f32 v[36:37], v[0:1], v[36:37]
	v_mov_b32_e32 v87, v83
	v_pk_add_f32 v[36:37], v[78:79], v[36:37]
	v_mov_b32_e32 v83, v85
	s_mov_b32 s24, s14
	s_mov_b32 s25, s8
	v_pk_add_f32 v[74:75], v[82:83], v[36:37]
	s_mov_b32 s3, s16
	v_pk_mul_f32 v[36:37], v[16:17], s[24:25]
	v_mov_b32_e32 v86, v84
	v_pk_fma_f32 v[78:79], v[14:15], s[2:3], v[36:37] op_sel:[0,0,1] op_sel_hi:[1,1,0]
	v_pk_fma_f32 v[80:81], v[14:15], s[2:3], v[36:37] op_sel:[0,0,1] op_sel_hi:[1,1,0] neg_lo:[0,0,1] neg_hi:[0,0,1]
	v_pk_add_f32 v[76:77], v[86:87], v[76:77]
	v_mov_b32_e32 v36, v80
	v_mov_b32_e32 v37, v79
	s_mov_b32 s24, 0xbe903f40
	v_pk_add_f32 v[86:87], v[36:37], v[76:77]
	v_pk_mul_f32 v[36:37], v[16:17], s[24:25] op_sel_hi:[1,0]
	v_pk_add_f32 v[84:85], v[28:29], v[26:27]
	v_pk_fma_f32 v[76:77], v[14:15], s[18:19], v[36:37] op_sel:[0,0,1] op_sel_hi:[1,0,0]
	v_pk_fma_f32 v[82:83], v[14:15], s[18:19], v[36:37] op_sel:[0,0,1] op_sel_hi:[1,0,0] neg_lo:[0,0,1] neg_hi:[0,0,1]
	v_mov_b32_e32 v36, v76
	v_mov_b32_e32 v37, v83
	v_pk_add_f32 v[26:27], v[26:27], v[28:29] neg_lo:[0,1] neg_hi:[0,1]
	v_pk_mul_f32 v[28:29], v[8:9], s[8:9] op_sel_hi:[1,0]
	v_pk_add_f32 v[30:31], v[36:37], v[30:31]
	v_pk_fma_f32 v[36:37], v[6:7], s[2:3], v[28:29] op_sel:[0,0,1] op_sel_hi:[1,0,0] neg_lo:[0,0,1] neg_hi:[0,0,1]
	v_pk_fma_f32 v[88:89], v[6:7], s[2:3], v[28:29] op_sel:[0,0,1] op_sel_hi:[1,0,0]
	s_mov_b32 s14, s19
	v_mov_b32_e32 v37, v89
	v_pk_mul_f32 v[88:89], v[4:5], s[26:27] op_sel_hi:[1,0]
	s_mov_b32 s20, s27
	v_pk_fma_f32 v[90:91], v[2:3], s[14:15], v[88:89] op_sel:[0,0,1] op_sel_hi:[1,0,0] neg_lo:[0,0,1] neg_hi:[0,0,1]
	v_pk_fma_f32 v[88:89], v[2:3], s[14:15], v[88:89] op_sel:[0,0,1] op_sel_hi:[1,0,0]
	v_mov_b32_e32 v92, v90
	v_mov_b32_e32 v93, v89
	v_pk_add_f32 v[92:93], v[0:1], v[92:93]
	v_mov_b32_e32 v101, v29
	v_pk_add_f32 v[36:37], v[36:37], v[92:93]
	v_pk_mul_f32 v[92:93], v[12:13], s[20:21] op_sel_hi:[1,0]
	v_mov_b32_e32 v72, v73
	v_pk_fma_f32 v[94:95], v[10:11], s[18:19], v[92:93] op_sel:[0,0,1] op_sel_hi:[1,0,0] neg_lo:[0,0,1] neg_hi:[0,0,1]
	v_pk_fma_f32 v[96:97], v[10:11], s[18:19], v[92:93] op_sel:[0,0,1] op_sel_hi:[1,0,0]
	v_mov_b32_e32 v100, v93
	v_mov_b32_e32 v95, v97
	v_pk_add_f32 v[36:37], v[94:95], v[36:37]
	v_pk_mul_f32 v[94:95], v[6:7], s[2:3] op_sel_hi:[1,0]
	v_pk_mul_f32 v[96:97], v[10:11], s[18:19] op_sel_hi:[1,0]
	v_mov_b32_e32 v99, v94
	v_mov_b32_e32 v94, v97
	;; [unrolled: 1-line block ×3, first 2 shown]
	v_pk_add_f32 v[28:29], v[94:95], v[92:93] neg_lo:[0,1] neg_hi:[0,1]
	v_pk_mul_f32 v[92:93], v[16:17], s[22:23] op_sel_hi:[1,0]
	v_mov_b32_e32 v98, v96
	v_pk_fma_f32 v[94:95], v[14:15], s[10:11], v[92:93] op_sel:[0,0,1] op_sel_hi:[1,0,0] neg_lo:[0,0,1] neg_hi:[0,0,1]
	v_pk_fma_f32 v[96:97], v[14:15], s[10:11], v[92:93] op_sel:[0,0,1] op_sel_hi:[1,0,0]
	v_mov_b32_e32 v73, v68
	v_mov_b32_e32 v95, v97
	s_mov_b32 s20, 0x3f0a6770
	v_pk_add_f32 v[38:39], v[72:73], v[38:39]
	v_mov_b32_e32 v68, v81
	v_mov_b32_e32 v69, v78
	s_mov_b32 s3, s18
	v_pk_mul_f32 v[72:73], v[26:27], s[24:25]
	v_pk_add_f32 v[36:37], v[94:95], v[36:37]
	v_pk_mul_f32 v[94:95], v[26:27], s[20:21] op_sel_hi:[1,0]
	v_pk_add_f32 v[68:69], v[68:69], v[74:75] op_sel:[0,1] op_sel_hi:[1,0]
	v_pk_fma_f32 v[74:75], v[84:85], s[2:3], v[72:73] op_sel:[0,0,1] op_sel_hi:[1,1,0]
	v_pk_fma_f32 v[72:73], v[84:85], s[2:3], v[72:73] op_sel:[0,0,1] op_sel_hi:[1,1,0] neg_lo:[0,0,1] neg_hi:[0,0,1]
	v_mov_b32_e32 v19, v21
	v_pk_add_f32 v[98:99], v[98:99], v[100:101]
	v_pk_fma_f32 v[96:97], v[84:85], s[16:17], v[94:95] op_sel:[0,0,1] op_sel_hi:[1,0,0] neg_lo:[0,0,1] neg_hi:[0,0,1]
	v_pk_fma_f32 v[100:101], v[84:85], s[16:17], v[94:95] op_sel:[0,0,1] op_sel_hi:[1,0,0]
	v_mov_b32_e32 v80, v74
	v_mov_b32_e32 v74, v75
	;; [unrolled: 1-line block ×3, first 2 shown]
	s_mov_b32 s19, s2
	v_mov_b32_e32 v23, v25
	v_pk_add_f32 v[18:19], v[0:1], v[18:19]
	s_mov_b32 s22, s21
	v_mov_b32_e32 v97, v101
	v_pk_add_f32 v[74:75], v[74:75], v[40:41]
	s_mov_b32 s9, s24
	v_pk_mul_f32 v[40:41], v[84:85], s[18:19]
	v_pk_add_f32 v[18:19], v[22:23], v[18:19]
	v_mov_b32_e32 v33, v35
	v_pk_mul_f32 v[20:21], v[26:27], s[22:23] op_sel_hi:[1,0]
	v_pk_add_f32 v[36:37], v[96:97], v[36:37]
	v_pk_mul_f32 v[96:97], v[14:15], s[10:11] op_sel_hi:[1,0]
	v_pk_mul_f32 v[100:101], v[84:85], s[16:17] op_sel_hi:[1,0]
	v_mov_b32_e32 v81, v73
	v_pk_fma_f32 v[72:73], v[26:27], s[8:9], v[40:41] op_sel:[0,0,1] op_sel_hi:[1,1,0] neg_lo:[1,0,0] neg_hi:[1,0,0]
	v_pk_fma_f32 v[40:41], v[26:27], s[8:9], v[40:41] op_sel:[0,0,1] op_sel_hi:[1,1,0]
	v_pk_add_f32 v[18:19], v[32:33], v[18:19]
	v_mov_b32_e32 v83, v77
	v_pk_fma_f32 v[22:23], v[84:85], s[14:15], v[20:21] op_sel:[0,0,1] op_sel_hi:[1,0,0] neg_lo:[0,0,1] neg_hi:[0,0,1]
	v_pk_fma_f32 v[20:21], v[84:85], s[14:15], v[20:21] op_sel:[0,0,1] op_sel_hi:[1,0,0]
	v_mov_b32_e32 v103, v96
	v_mov_b32_e32 v104, v95
	;; [unrolled: 1-line block ×6, first 2 shown]
	v_pk_add_f32 v[18:19], v[82:83], v[18:19]
	v_mov_b32_e32 v24, v22
	v_mov_b32_e32 v25, v21
	v_pk_mul_f32 v[4:5], v[4:5], s[24:25] op_sel_hi:[1,0]
	v_mov_b32_e32 v105, v93
	v_pk_add_f32 v[92:93], v[96:97], v[94:95] neg_lo:[0,1] neg_hi:[0,1]
	v_mov_b32_e32 v94, v73
	v_pk_add_f32 v[72:73], v[78:79], v[68:69]
	v_pk_add_f32 v[78:79], v[24:25], v[18:19]
	v_pk_fma_f32 v[18:19], v[2:3], s[18:19], v[4:5] op_sel:[0,0,1] op_sel_hi:[1,0,0]
	v_pk_fma_f32 v[2:3], v[2:3], s[18:19], v[4:5] op_sel:[0,0,1] op_sel_hi:[1,0,0] neg_lo:[0,0,1] neg_hi:[0,0,1]
	v_pk_mul_f32 v[4:5], v[8:9], s[20:21] op_sel_hi:[1,0]
	v_mov_b32_e32 v21, v23
	v_pk_fma_f32 v[8:9], v[6:7], s[16:17], v[4:5] op_sel:[0,0,1] op_sel_hi:[1,0,0]
	v_pk_fma_f32 v[4:5], v[6:7], s[16:17], v[4:5] op_sel:[0,0,1] op_sel_hi:[1,0,0] neg_lo:[0,0,1] neg_hi:[0,0,1]
	v_mov_b32_e32 v6, v18
	v_mov_b32_e32 v7, v3
	v_pk_add_f32 v[76:77], v[20:21], v[30:31]
	v_pk_add_f32 v[6:7], v[0:1], v[6:7]
	v_mov_b32_e32 v20, v8
	v_mov_b32_e32 v21, v5
	v_pk_mul_f32 v[12:13], v[12:13], s[8:9] op_sel_hi:[1,0]
	v_pk_add_f32 v[6:7], v[20:21], v[6:7]
	v_pk_fma_f32 v[20:21], v[10:11], s[2:3], v[12:13] op_sel:[0,0,1] op_sel_hi:[1,0,0]
	v_pk_fma_f32 v[10:11], v[10:11], s[2:3], v[12:13] op_sel:[0,0,1] op_sel_hi:[1,0,0] neg_lo:[0,0,1] neg_hi:[0,0,1]
	v_mov_b32_e32 v12, v20
	v_mov_b32_e32 v13, v11
	;; [unrolled: 1-line block ×3, first 2 shown]
	v_pk_add_f32 v[6:7], v[12:13], v[6:7]
	v_pk_mul_f32 v[12:13], v[16:17], s[22:23] op_sel_hi:[1,0]
	v_mov_b32_e32 v5, v9
	v_pk_add_f32 v[2:3], v[0:1], v[2:3]
	s_mov_b32 s2, s15
	v_pk_fma_f32 v[16:17], v[14:15], s[14:15], v[12:13] op_sel:[0,0,1] op_sel_hi:[1,0,0]
	v_pk_fma_f32 v[12:13], v[14:15], s[14:15], v[12:13] op_sel:[0,0,1] op_sel_hi:[1,0,0] neg_lo:[0,0,1] neg_hi:[0,0,1]
	v_pk_add_f32 v[2:3], v[4:5], v[2:3]
	v_mov_b32_e32 v11, v21
	v_pk_mul_f32 v[4:5], v[26:27], s[2:3] op_sel_hi:[1,0]
	v_mov_b32_e32 v15, v13
	v_pk_add_f32 v[2:3], v[10:11], v[2:3]
	v_mov_b32_e32 v13, v17
	v_pk_fma_f32 v[8:9], v[84:85], s[10:11], v[4:5] op_sel:[0,0,1] op_sel_hi:[1,0,0] neg_lo:[0,0,1] neg_hi:[0,0,1]
	v_pk_fma_f32 v[4:5], v[84:85], s[10:11], v[4:5] op_sel:[0,0,1] op_sel_hi:[1,0,0]
	v_mov_b32_e32 v95, v40
	v_pk_add_f32 v[2:3], v[12:13], v[2:3]
	v_mov_b32_e32 v10, v8
	v_mov_b32_e32 v11, v5
	v_pk_add_f32 v[82:83], v[10:11], v[2:3]
	v_mul_u32_u24_e32 v2, 11, v106
	v_pk_add_f32 v[34:35], v[94:95], v[86:87]
	v_add_lshl_u32 v108, v108, v2, 3
	v_mov_b32_e32 v2, v34
	v_mov_b32_e32 v3, v74
	ds_write2_b64 v108, v[70:71], v[2:3] offset1:1
	v_mov_b32_e32 v2, v75
	v_mov_b32_e32 v3, v35
	;; [unrolled: 1-line block ×4, first 2 shown]
	ds_write2_b64 v108, v[36:37], v[2:3] offset0:2 offset1:3
	v_pk_add_f32 v[0:1], v[0:1], v[88:89]
	v_mov_b32_e32 v2, v99
	v_mov_b32_e32 v3, v29
	v_pk_add_f32 v[102:103], v[102:103], v[104:105]
	v_pk_add_f32 v[0:1], v[2:3], v[0:1]
	v_mov_b32_e32 v99, v28
	s_load_dwordx2 s[8:9], s[0:1], 0x38
	v_pk_add_f32 v[0:1], v[98:99], v[0:1]
	v_mov_b32_e32 v2, v103
	v_mov_b32_e32 v3, v93
	;; [unrolled: 1-line block ×3, first 2 shown]
	v_pk_add_f32 v[0:1], v[2:3], v[0:1]
	v_pk_add_f32 v[28:29], v[80:81], v[38:39]
	v_mov_b32_e32 v103, v92
	v_pk_add_f32 v[6:7], v[14:15], v[6:7]
	v_mov_b32_e32 v5, v9
	;; [unrolled: 2-line block ×3, first 2 shown]
	v_mov_b32_e32 v1, v72
	v_pk_add_f32 v[84:85], v[4:5], v[6:7]
	ds_write2_b64 v108, v[78:79], v[82:83] offset0:4 offset1:5
	ds_write2_b64 v108, v[84:85], v[76:77] offset0:6 offset1:7
	;; [unrolled: 1-line block ×3, first 2 shown]
	v_mov_b32_e32 v0, v73
	v_mov_b32_e32 v1, v29
	v_cmp_lt_u32_e64 s[2:3], 10, v106
	ds_write_b64 v108, v[0:1] offset:80
	s_waitcnt lgkmcnt(0)
	; wave barrier
	s_waitcnt lgkmcnt(0)
                                        ; implicit-def: $vgpr90_vgpr91
	s_and_saveexec_b64 s[10:11], s[2:3]
	s_xor_b64 s[10:11], exec, s[10:11]
; %bb.2:
	v_mov_b32_e32 v90, v81
; %bb.3:
	s_or_saveexec_b64 s[10:11], s[10:11]
	s_load_dwordx2 s[0:1], s[0:1], 0x8
	v_mov_b64_e32 v[86:87], v[90:91]
                                        ; implicit-def: $vgpr88
                                        ; implicit-def: $vgpr40
                                        ; implicit-def: $vgpr32
	s_xor_b64 exec, exec, s[10:11]
	s_cbranch_execz .LBB0_5
; %bb.4:
	ds_read2_b64 v[34:37], v57 offset0:11 offset1:22
	ds_read2_b64 v[0:3], v57 offset0:33 offset1:44
	ds_read2_b64 v[4:7], v57 offset0:55 offset1:66
	ds_read2_b64 v[26:29], v57 offset0:77 offset1:88
	ds_read2_b64 v[8:11], v57 offset0:99 offset1:110
	ds_read2_b64 v[30:33], v57 offset0:121 offset1:132
	ds_read2_b64 v[38:41], v57 offset0:143 offset1:154
	ds_read_b64 v[70:71], v107
	ds_read_b64 v[88:89], v57 offset:1320
	s_waitcnt lgkmcnt(0)
	v_mov_b32_e32 v86, v9
	v_mov_b32_e32 v9, v31
	;; [unrolled: 1-line block ×9, first 2 shown]
	v_mov_b64_e32 v[80:81], v[8:9]
	v_mov_b64_e32 v[76:77], v[26:27]
	;; [unrolled: 1-line block ×5, first 2 shown]
	v_mov_b32_e32 v87, v30
.LBB0_5:
	s_or_b64 exec, exec, s[10:11]
	v_add_u32_e32 v0, -11, v106
	v_cndmask_b32_e32 v0, v0, v106, vcc
	v_mul_hi_i32_i24_e32 v1, 0x78, v0
	v_mul_i32_i24_e32 v0, 0x78, v0
	s_waitcnt lgkmcnt(0)
	v_lshl_add_u64 v[30:31], s[0:1], 0, v[0:1]
	global_load_dwordx4 v[0:3], v[30:31], off
	global_load_dwordx4 v[4:7], v[30:31], off offset:96
	global_load_dwordx4 v[12:15], v[30:31], off offset:16
	;; [unrolled: 1-line block ×4, first 2 shown]
	global_load_dwordx2 v[68:69], v[30:31], off offset:112
	global_load_dwordx4 v[16:19], v[30:31], off offset:64
	global_load_dwordx4 v[24:27], v[30:31], off offset:80
	v_mov_b32_e32 v94, v83
	v_mov_b32_e32 v98, v39
	;; [unrolled: 1-line block ×6, first 2 shown]
	s_mov_b32 s0, 0x3f3504f3
	s_mov_b32 s10, 0x3ec3ef15
	;; [unrolled: 1-line block ×6, first 2 shown]
	s_waitcnt vmcnt(7)
	v_pk_mul_f32 v[104:105], v[36:37], v[2:3]
	s_waitcnt vmcnt(6)
	v_pk_mul_f32 v[110:111], v[38:39], v[4:5]
	;; [unrolled: 2-line block ×3, first 2 shown]
	v_mov_b32_e32 v104, v5
	s_waitcnt vmcnt(4)
	v_mov_b32_e32 v116, v9
	v_mul_f32_e32 v109, v37, v2
	v_pk_mul_f32 v[114:115], v[40:41], v[6:7]
	v_mov_b32_e32 v110, v15
	v_mul_f32_e32 v133, v85, v10
	v_pk_mul_f32 v[124:125], v[84:85], v[10:11]
	s_waitcnt vmcnt(2)
	v_pk_mul_f32 v[126:127], v[88:89], v[68:69]
	s_waitcnt vmcnt(0)
	v_pk_mul_f32 v[90:91], v[90:91], v[24:25]
	v_mul_f32_e32 v85, v29, v18
	v_pk_mul_f32 v[128:129], v[38:39], v[104:105]
	v_mov_b32_e32 v104, v117
	v_pk_mul_f32 v[116:117], v[82:83], v[116:117]
	v_mov_b32_e32 v112, v1
	v_mov_b32_e32 v113, v13
	v_mul_f32_e32 v131, v41, v6
	v_mov_b32_e32 v126, v111
	v_fmac_f32_e32 v109, v36, v3
	v_pk_mul_f32 v[110:111], v[78:79], v[110:111]
	v_sub_f32_e32 v124, v124, v125
	v_mov_b32_e32 v31, v90
	v_fmac_f32_e32 v85, v73, v19
	v_sub_f32_e32 v114, v114, v115
	v_pk_fma_f32 v[94:95], v[94:95], v[8:9], v[116:117]
	v_pk_fma_f32 v[98:99], v[98:99], v[4:5], v[128:129] op_sel_hi:[0,1,1]
	v_mov_b32_e32 v102, v1
	v_fmac_f32_e32 v133, v84, v11
	v_mov_b32_e32 v84, v0
	v_pk_mul_f32 v[112:113], v[34:35], v[112:113]
	v_fmac_f32_e32 v131, v40, v7
	v_mov_b32_e32 v40, v105
	v_pk_fma_f32 v[90:91], v[38:39], v[4:5], v[126:127] neg_lo:[0,0,1] neg_hi:[0,0,1]
	v_pk_fma_f32 v[38:39], v[30:31], v[12:13], v[104:105]
	v_pk_fma_f32 v[92:93], v[92:93], v[14:15], v[110:111]
	;; [unrolled: 1-line block ×3, first 2 shown]
	v_sub_f32_e32 v30, v109, v85
	v_sub_f32_e32 v31, v124, v114
	v_pk_add_f32 v[98:99], v[94:95], v[98:99] neg_lo:[0,1] neg_hi:[0,1]
	v_mov_b32_e32 v85, v12
	v_pk_mul_f32 v[102:103], v[74:75], v[102:103]
	v_pk_fma_f32 v[40:41], v[36:37], v[2:3], v[40:41] neg_lo:[0,0,1] neg_hi:[0,0,1]
	v_fma_f32 v37, v124, 2.0, -v31
	v_add_f32_e32 v31, v30, v31
	v_fma_f32 v93, v94, 2.0, -v98
	v_pk_fma_f32 v[94:95], v[74:75], v[84:85], v[112:113]
	v_pk_fma_f32 v[74:75], v[74:75], v[84:85], v[112:113] neg_lo:[0,0,1] neg_hi:[0,0,1]
	v_mov_b32_e32 v84, v23
	v_mov_b32_e32 v85, v19
	v_pk_mul_f32 v[122:123], v[76:77], v[20:21]
	v_fma_f32 v39, v109, 2.0, -v30
	v_fma_f32 v109, v30, 2.0, -v31
	v_mul_f32_e32 v36, 0x3f3504f3, v31
	v_mov_b32_e32 v30, v22
	v_mov_b32_e32 v31, v18
	v_pk_mul_f32 v[84:85], v[28:29], v[84:85]
	v_mov_b32_e32 v122, v17
	v_pk_fma_f32 v[30:31], v[72:73], v[30:31], v[84:85] neg_lo:[0,0,1] neg_hi:[0,0,1]
	v_pk_fma_f32 v[84:85], v[72:73], v[22:23], v[84:85]
	v_mov_b32_e32 v134, v123
	v_pk_mul_f32 v[122:123], v[86:87], v[122:123]
	v_mov_b32_e32 v85, v31
	v_mov_b32_e32 v30, v17
	v_mov_b32_e32 v31, v25
	v_pk_fma_f32 v[34:35], v[34:35], v[0:1], v[102:103] neg_lo:[0,0,1] neg_hi:[0,0,1]
	v_pk_fma_f32 v[102:103], v[80:81], v[16:17], v[122:123] neg_lo:[0,0,1] neg_hi:[0,0,1]
	v_pk_mul_f32 v[30:31], v[80:81], v[30:31]
	v_mov_b32_e32 v80, v16
	v_mov_b32_e32 v81, v24
	v_pk_fma_f32 v[80:81], v[86:87], v[80:81], v[30:31] neg_lo:[0,0,1] neg_hi:[0,0,1]
	v_pk_fma_f32 v[86:87], v[86:87], v[16:17], v[30:31]
	v_pk_mul_f32 v[118:119], v[78:79], v[14:15]
	v_mov_b32_e32 v87, v81
	v_pk_mul_f32 v[80:81], v[32:33], v[26:27]
	v_mov_b32_e32 v130, v119
	v_mov_b32_e32 v74, v81
	v_pk_mul_f32 v[120:121], v[82:83], v[8:9]
	v_pk_fma_f32 v[78:79], v[78:79], v[14:15], v[130:131] neg_lo:[0,0,1] neg_hi:[0,0,1]
	v_pk_fma_f32 v[80:81], v[32:33], v[26:27], v[74:75] neg_lo:[0,0,1] neg_hi:[0,0,1]
	v_mov_b32_e32 v132, v121
	v_pk_add_f32 v[80:81], v[78:79], v[80:81] neg_lo:[0,1] neg_hi:[0,1]
	v_pk_fma_f32 v[82:83], v[82:83], v[8:9], v[132:133] neg_lo:[0,0,1] neg_hi:[0,0,1]
	v_add_f32_e32 v81, v40, v40
	v_mov_b32_e32 v41, v40
	v_mov_b32_e32 v40, v71
	v_mov_b32_e32 v103, 2.0
	v_mov_b32_e32 v118, v21
	v_mov_b32_e32 v120, v69
	;; [unrolled: 1-line block ×3, first 2 shown]
	v_pk_add_f32 v[84:85], v[40:41], v[84:85] neg_lo:[0,1] neg_hi:[0,1]
	v_pk_add_f32 v[110:111], v[34:35], v[102:103] op_sel_hi:[0,1] neg_lo:[0,1] neg_hi:[0,1]
	v_pk_mul_f32 v[40:41], v[34:35], v[102:103] op_sel_hi:[0,1]
	v_fma_f32 v35, v78, 2.0, -v80
	v_pk_add_f32 v[78:79], v[82:83], v[90:91] neg_lo:[0,1] neg_hi:[0,1]
	v_pk_mul_f32 v[118:119], v[76:77], v[118:119]
	v_pk_mul_f32 v[120:121], v[88:89], v[120:121]
	v_pk_fma_f32 v[76:77], v[76:77], v[20:21], v[134:135] neg_lo:[0,0,1] neg_hi:[0,0,1]
	v_pk_fma_f32 v[88:89], v[88:89], v[68:69], v[136:137] neg_lo:[0,0,1] neg_hi:[0,0,1]
	v_mov_b32_e32 v95, v75
	v_add_f32_e32 v79, v75, v75
	v_pk_add_f32 v[102:103], v[80:81], v[84:85]
	v_pk_add_f32 v[74:75], v[80:81], v[84:85] neg_lo:[0,1] neg_hi:[0,1]
	v_mov_b32_e32 v90, v33
	v_mov_b32_e32 v33, v72
	;; [unrolled: 1-line block ×4, first 2 shown]
	v_fma_f32 v29, v82, 2.0, -v78
	v_pk_add_f32 v[82:83], v[76:77], v[88:89] neg_lo:[0,1] neg_hi:[0,1]
	v_pk_mul_f32 v[32:33], v[32:33], v[80:81]
	v_pk_add_f32 v[112:113], v[102:103], v[36:37]
	v_pk_add_f32 v[80:81], v[74:75], v[36:37] neg_lo:[0,1] neg_hi:[0,1]
	v_fma_f32 v89, v76, 2.0, -v82
	v_mov_b32_e32 v111, v41
	v_fma_f32 v41, v71, 2.0, -v84
	v_pk_add_f32 v[76:77], v[94:95], v[86:87] neg_lo:[0,1] neg_hi:[0,1]
	v_mov_b32_e32 v91, v28
	v_mov_b32_e32 v113, v81
	v_fma_f32 v71, v75, 2.0, -v81
	v_mov_b32_e32 v80, v26
	v_mov_b32_e32 v81, v22
	v_fma_f32 v87, v94, 2.0, -v76
	v_pk_fma_f32 v[80:81], v[90:91], v[80:81], v[32:33] neg_lo:[0,0,1] neg_hi:[0,0,1]
	v_pk_fma_f32 v[32:33], v[90:91], v[26:27], v[32:33]
	v_pk_fma_f32 v[96:97], v[96:97], v[20:21], v[118:119]
	;; [unrolled: 1-line block ×3, first 2 shown]
	v_sub_f32_e32 v75, v87, v93
	v_mov_b32_e32 v33, v81
	v_mov_b32_e32 v93, v70
	v_pk_add_f32 v[32:33], v[92:93], v[32:33] neg_lo:[0,1] neg_hi:[0,1]
	v_mov_b32_e32 v97, v38
	v_mov_b32_e32 v101, v105
	v_sub_f32_e32 v34, v133, v131
	v_fma_f32 v103, v92, 2.0, -v32
	v_pk_add_f32 v[80:81], v[96:97], v[100:101] neg_lo:[0,1] neg_hi:[0,1]
	v_mov_b32_e32 v92, v77
	v_mov_b32_e32 v93, v82
	v_sub_f32_e32 v28, v85, v34
	v_mov_b32_e32 v99, v110
	v_pk_add_f32 v[82:83], v[92:93], v[80:81] neg_lo:[0,1] neg_hi:[0,1]
	v_add_f32_e32 v73, v70, v70
	v_fma_f32 v40, v133, 2.0, -v34
	v_fma_f32 v37, v85, 2.0, -v28
	v_pk_add_f32 v[98:99], v[110:111], v[98:99] neg_lo:[0,1] neg_hi:[0,1]
	v_mul_f32_e32 v34, 0x3f3504f3, v28
	v_mov_b32_e32 v72, v33
	v_pk_add_f32 v[92:93], v[92:93], v[80:81]
	v_mul_f32_e32 v28, 0x3f3504f3, v82
	v_pk_add_f32 v[90:91], v[78:79], v[76:77]
	v_pk_add_f32 v[78:79], v[78:79], v[76:77] neg_lo:[0,1] neg_hi:[0,1]
	v_pk_add_f32 v[72:73], v[72:73], v[32:33] neg_lo:[0,1] neg_hi:[0,1]
	v_fma_f32 v32, v96, 2.0, -v80
	v_mov_b32_e32 v83, v93
	v_mul_f32_e32 v88, 0x3f3504f3, v93
	v_pk_add_f32 v[96:97], v[98:99], v[28:29]
	v_pk_add_f32 v[92:93], v[98:99], v[28:29] neg_lo:[0,1] neg_hi:[0,1]
	v_fma_f32 v29, v38, 2.0, -v81
	v_lshl_add_u64 v[30:31], s[12:13], 0, v[66:67]
	v_sub_f32_e32 v67, v39, v40
	v_mov_b32_e32 v86, v99
	v_mov_b32_e32 v97, v93
	;; [unrolled: 1-line block ×3, first 2 shown]
	v_pk_add_f32 v[92:93], v[78:79], v[88:89] neg_lo:[0,1] neg_hi:[0,1]
	v_pk_add_f32 v[104:105], v[72:73], v[34:35]
	v_mov_b32_e32 v111, v76
	v_mov_b32_e32 v80, v77
	v_pk_add_f32 v[76:77], v[72:73], v[34:35] neg_lo:[0,1] neg_hi:[0,1]
	v_sub_f32_e32 v35, v29, v32
	v_mov_b32_e32 v99, v90
	v_fma_f32 v114, v39, 2.0, -v67
	v_add_f32_e32 v115, v73, v73
	v_pk_add_f32 v[100:101], v[90:91], v[88:89]
	v_fma_f32 v91, v79, 2.0, -v93
	v_fma_f32 v29, v29, 2.0, -v35
	v_pk_fma_f32 v[38:39], v[86:87], 2.0, v[74:75] op_sel_hi:[1,0,1] neg_lo:[0,0,1] neg_hi:[0,0,1]
	v_pk_fma_f32 v[78:79], v[110:111], 2.0, v[98:99] op_sel_hi:[1,0,1] neg_lo:[0,0,1] neg_hi:[0,0,1]
	;; [unrolled: 1-line block ×3, first 2 shown]
	v_mov_b32_e32 v32, v33
	v_mov_b32_e32 v33, v84
	;; [unrolled: 1-line block ×4, first 2 shown]
	v_pk_fma_f32 v[80:81], v[32:33], 2.0, v[72:73] op_sel_hi:[1,0,1] neg_lo:[0,0,1] neg_hi:[0,0,1]
	v_pk_mul_f32 v[32:33], v[86:87], s[0:1] op_sel_hi:[1,0]
	v_pk_fma_f32 v[84:85], v[86:87], s[0:1], v[78:79] op_sel_hi:[1,0,1] neg_lo:[1,0,0] neg_hi:[1,0,0]
	v_sub_f32_e32 v93, v39, v29
	v_mov_b32_e32 v89, v35
	v_mov_b32_e32 v29, v75
	v_fmamk_f32 v82, v109, 0xbf3504f3, v81
	v_pk_add_f32 v[86:87], v[84:85], v[32:33] op_sel:[0,1] op_sel_hi:[1,0] neg_lo:[0,1] neg_hi:[0,1]
	v_pk_add_f32 v[94:95], v[84:85], v[32:33] op_sel:[0,1] op_sel_hi:[1,0]
	v_pk_add_f32 v[84:85], v[96:97], v[88:89] neg_lo:[0,1] neg_hi:[0,1]
	v_pk_add_f32 v[88:89], v[28:29], v[100:101]
	v_sub_f32_e32 v35, v41, v103
	v_fmac_f32_e32 v82, 0x3f3504f3, v37
	v_fma_f32 v33, v90, 2.0, -v88
	v_mul_f32_e32 v90, 0x3ec3ef15, v95
	v_mov_b32_e32 v83, v38
	v_fma_f32 v103, v41, 2.0, -v35
	v_mov_b32_e32 v105, v77
	v_fma_f32 v32, v98, 2.0, -v84
	v_pk_add_f32 v[110:111], v[82:83], v[90:91]
	v_pk_add_f32 v[98:99], v[82:83], v[90:91] neg_lo:[0,1] neg_hi:[0,1]
	v_sub_f32_e32 v91, v103, v114
	v_fmamk_f32 v114, v37, 0xbf3504f3, v80
	v_mov_b32_e32 v37, v67
	v_pk_add_f32 v[36:37], v[104:105], v[36:37] neg_lo:[0,1] neg_hi:[0,1]
	v_pk_add_f32 v[96:97], v[34:35], v[112:113]
	v_mul_f32_e32 v40, 0x3f3504f3, v109
	v_fma_f32 v34, v72, 2.0, -v36
	v_fma_f32 v67, v102, 2.0, -v96
	v_mov_b32_e32 v41, v77
	v_mul_f32_e32 v70, 0x3ec3ef15, v86
	v_pk_mul_f32 v[116:117], v[84:85], s[10:11]
	v_fmamk_f32 v28, v32, 0xbec3ef15, v34
	v_fmamk_f32 v29, v33, 0xbec3ef15, v67
	v_pk_add_f32 v[100:101], v[114:115], v[40:41] neg_lo:[0,1] neg_hi:[0,1]
	v_pk_mul_f32 v[118:119], v[88:89], s[14:15]
	v_mul_f32_e32 v116, 0x3f6c835e, v84
	v_fmac_f32_e32 v28, 0xbf6c835e, v33
	v_fmac_f32_e32 v29, 0x3f6c835e, v32
	v_pk_add_f32 v[32:33], v[100:101], v[70:71]
	v_pk_add_f32 v[104:105], v[100:101], v[70:71] neg_lo:[0,1] neg_hi:[0,1]
	v_mov_b32_e32 v111, v99
	v_mul_f32_e32 v92, 0x3f6c835e, v95
	v_mul_f32_e32 v90, 0x3f6c835e, v86
	v_mov_b32_e32 v33, v105
	v_pk_add_f32 v[40:41], v[36:37], v[116:117]
	v_pk_fma_f32 v[72:73], v[88:89], s[14:15], v[96:97]
	v_mul_f32_e32 v118, 0x3ec3ef15, v88
	v_pk_add_f32 v[32:33], v[32:33], v[92:93] neg_lo:[0,1] neg_hi:[0,1]
	v_pk_add_f32 v[70:71], v[90:91], v[110:111]
	v_pk_add_f32 v[40:41], v[40:41], v[118:119] neg_lo:[0,1] neg_hi:[0,1]
	v_pk_fma_f32 v[72:73], v[84:85], s[10:11], v[72:73]
	s_and_saveexec_b64 s[14:15], vcc
	s_cbranch_execz .LBB0_7
; %bb.6:
	v_mov_b32_e32 v87, v95
	v_mov_b32_e32 v102, v101
	v_mov_b32_e32 v101, v82
	v_pk_fma_f32 v[78:79], v[78:79], 2.0, v[86:87] op_sel_hi:[1,0,1] neg_lo:[0,0,1] neg_hi:[0,0,1]
	v_pk_fma_f32 v[80:81], v[80:81], 2.0, v[100:101] op_sel_hi:[1,0,1] neg_lo:[0,0,1] neg_hi:[0,0,1]
	v_fma_f32 v94, v34, 2.0, -v28
	v_pk_fma_f32 v[82:83], v[78:79], s[16:17], v[80:81] op_sel_hi:[1,0,1]
	v_pk_mul_f32 v[78:79], v[78:79], s[10:11] op_sel_hi:[1,0]
	v_mov_b32_e32 v88, v85
	v_pk_add_f32 v[86:87], v[82:83], v[78:79] op_sel:[0,1] op_sel_hi:[1,0] neg_lo:[0,1] neg_hi:[0,1]
	v_pk_add_f32 v[78:79], v[82:83], v[78:79] op_sel:[0,1] op_sel_hi:[1,0]
	v_mov_b32_e32 v34, v77
	v_mov_b32_e32 v76, v37
	;; [unrolled: 1-line block ×4, first 2 shown]
	v_pk_fma_f32 v[74:75], v[74:75], 2.0, v[88:89] op_sel_hi:[1,0,1] neg_lo:[0,0,1] neg_hi:[0,0,1]
	v_pk_fma_f32 v[34:35], v[34:35], 2.0, v[76:77] op_sel_hi:[1,0,1] neg_lo:[0,0,1] neg_hi:[0,0,1]
	v_mov_b32_e32 v90, v105
	v_mov_b32_e32 v92, v99
	v_pk_fma_f32 v[78:79], v[80:81], 2.0, v[86:87] op_sel_hi:[1,0,1] neg_lo:[0,0,1] neg_hi:[0,0,1]
	v_pk_mul_f32 v[80:81], v[74:75], s[0:1] op_sel_hi:[1,0]
	v_pk_fma_f32 v[74:75], v[74:75], s[0:1], v[34:35] op_sel_hi:[1,0,1] neg_lo:[1,0,0] neg_hi:[1,0,0]
	v_pk_fma_f32 v[102:103], v[102:103], 2.0, v[90:91] op_sel_hi:[1,0,1] neg_lo:[0,0,1] neg_hi:[0,0,1]
	v_pk_fma_f32 v[38:39], v[38:39], 2.0, v[92:93] op_sel_hi:[1,0,1] neg_lo:[0,0,1] neg_hi:[0,0,1]
	v_pk_add_f32 v[82:83], v[74:75], v[80:81] op_sel:[0,1] op_sel_hi:[1,0] neg_lo:[0,1] neg_hi:[0,1]
	v_pk_add_f32 v[74:75], v[74:75], v[80:81] op_sel:[0,1] op_sel_hi:[1,0]
	v_pk_add_f32 v[38:39], v[102:103], v[38:39] neg_lo:[0,1] neg_hi:[0,1]
	v_mov_b32_e32 v83, v75
	v_pk_fma_f32 v[92:93], v[102:103], 2.0, v[38:39] op_sel_hi:[1,0,1] neg_lo:[0,0,1] neg_hi:[0,0,1]
	v_pk_fma_f32 v[34:35], v[34:35], 2.0, v[82:83] op_sel_hi:[1,0,1] neg_lo:[0,0,1] neg_hi:[0,0,1]
	ds_write_b64 v107, v[92:93]
	ds_write2_b64 v57, v[78:79], v[34:35] offset0:11 offset1:22
	v_mov_b32_e32 v34, v33
	v_mov_b32_e32 v35, v71
	v_fma_f32 v95, v67, 2.0, -v29
	v_pk_fma_f32 v[74:75], v[90:91], 2.0, v[34:35] op_sel_hi:[1,0,1] neg_lo:[0,0,1] neg_hi:[0,0,1]
	ds_write2_b64 v57, v[94:95], v[74:75] offset0:33 offset1:44
	v_mov_b32_e32 v74, v32
	v_mov_b32_e32 v75, v70
	;; [unrolled: 1-line block ×4, first 2 shown]
	v_pk_fma_f32 v[78:79], v[100:101], 2.0, v[74:75] op_sel_hi:[1,0,1] neg_lo:[0,0,1] neg_hi:[0,0,1]
	v_pk_fma_f32 v[76:77], v[76:77], 2.0, v[80:81] op_sel_hi:[1,0,1] neg_lo:[0,0,1] neg_hi:[0,0,1]
	ds_write2_b64 v57, v[78:79], v[76:77] offset0:55 offset1:66
	v_mov_b32_e32 v37, v96
	v_mov_b32_e32 v76, v40
	;; [unrolled: 1-line block ×3, first 2 shown]
	v_pk_fma_f32 v[36:37], v[36:37], 2.0, v[76:77] op_sel_hi:[1,0,1] neg_lo:[0,0,1] neg_hi:[0,0,1]
	ds_write2_b64 v57, v[36:37], v[38:39] offset0:77 offset1:88
	ds_write2_b64 v57, v[86:87], v[82:83] offset0:99 offset1:110
	;; [unrolled: 1-line block ×4, first 2 shown]
	ds_write_b64 v57, v[76:77] offset:1320
.LBB0_7:
	s_or_b64 exec, exec, s[14:15]
	s_waitcnt lgkmcnt(0)
	; wave barrier
	s_waitcnt lgkmcnt(0)
	global_load_dwordx2 v[30:31], v[30:31], off offset:1408
	s_add_u32 s0, s12, 0x580
	s_addc_u32 s1, s13, 0
	global_load_dwordx2 v[38:39], v66, s[0:1] offset:128
	global_load_dwordx2 v[90:91], v66, s[0:1] offset:256
	;; [unrolled: 1-line block ×10, first 2 shown]
	ds_read_b64 v[34:35], v107
	s_mov_b32 s0, 0xbf0a6770
	s_mov_b32 s1, 0x3f575c64
	s_mov_b32 s10, s1
	s_mov_b32 s11, s0
	s_mov_b32 s13, 0x3ed4b147
	s_mov_b32 s12, 0xbf68dda4
	s_mov_b32 s26, s13
	s_mov_b32 s27, s12
	s_mov_b32 s16, 0xbf7d64f0
	s_mov_b32 s17, 0xbe11bafb
	s_mov_b32 s14, s17
	s_mov_b32 s15, s16
	s_mov_b32 s18, 0xbf4178ce
	s_mov_b32 s19, 0xbf27a4f4
	s_mov_b32 s22, s19
	s_mov_b32 s23, s18
	s_mov_b32 s20, 0xbe903f40
	s_mov_b32 s21, 0xbf75a155
	s_mov_b32 s24, s21
	s_mov_b32 s25, s20
	s_mov_b32 s38, 0x3e903f40
	s_mov_b32 s34, s21
	s_mov_b32 s35, s38
	s_mov_b32 s30, 0x3f7d64f0
	s_mov_b32 s39, s21
	s_mov_b32 s36, s17
	s_mov_b32 s37, s30
	s_mov_b32 s31, s17
	s_mov_b32 s28, s1
	s_waitcnt vmcnt(10) lgkmcnt(0)
	v_mul_f32_e32 v36, v35, v31
	v_mul_f32_e32 v37, v34, v31
	v_fma_f32 v36, v34, v30, -v36
	v_fmac_f32_e32 v37, v35, v30
	ds_write_b64 v107, v[36:37]
	ds_read2_b64 v[34:37], v57 offset0:16 offset1:32
	ds_read2_b64 v[74:77], v57 offset0:48 offset1:64
	;; [unrolled: 1-line block ×5, first 2 shown]
	s_waitcnt vmcnt(9) lgkmcnt(4)
	v_mul_f32_e32 v30, v35, v39
	v_mul_f32_e32 v31, v34, v39
	s_waitcnt vmcnt(8)
	v_mul_f32_e32 v66, v37, v91
	v_mul_f32_e32 v39, v36, v91
	s_waitcnt vmcnt(7) lgkmcnt(3)
	v_mul_f32_e32 v109, v75, v93
	v_mul_f32_e32 v67, v74, v93
	s_waitcnt vmcnt(6)
	v_mul_f32_e32 v112, v77, v95
	v_mul_f32_e32 v91, v76, v95
	;; [unrolled: 6-line block ×5, first 2 shown]
	v_fma_f32 v30, v34, v38, -v30
	v_fmac_f32_e32 v31, v35, v38
	v_fma_f32 v38, v36, v90, -v66
	v_fmac_f32_e32 v39, v37, v90
	;; [unrolled: 2-line block ×10, first 2 shown]
	ds_write2_b64 v57, v[30:31], v[38:39] offset0:16 offset1:32
	ds_write2_b64 v57, v[66:67], v[90:91] offset0:48 offset1:64
	;; [unrolled: 1-line block ×5, first 2 shown]
	s_waitcnt lgkmcnt(0)
	; wave barrier
	s_waitcnt lgkmcnt(0)
	ds_read2_b64 v[34:37], v57 offset0:144 offset1:160
	ds_read2_b64 v[78:81], v57 offset0:16 offset1:32
	ds_read_b64 v[74:75], v107
	ds_read2_b64 v[92:95], v57 offset0:48 offset1:64
	ds_read2_b64 v[96:99], v57 offset0:80 offset1:96
	;; [unrolled: 1-line block ×3, first 2 shown]
	s_waitcnt lgkmcnt(4)
	v_pk_add_f32 v[90:91], v[36:37], v[78:79]
	s_waitcnt lgkmcnt(3)
	v_pk_add_f32 v[66:67], v[74:75], v[78:79]
	v_pk_add_f32 v[30:31], v[78:79], v[36:37] neg_lo:[0,1] neg_hi:[0,1]
	v_pk_add_f32 v[66:67], v[66:67], v[80:81]
	v_mov_b32_e32 v82, v31
	v_mov_b32_e32 v83, v91
	;; [unrolled: 1-line block ×3, first 2 shown]
	s_waitcnt lgkmcnt(2)
	v_pk_add_f32 v[30:31], v[66:67], v[92:93]
	v_pk_add_f32 v[88:89], v[34:35], v[80:81]
	v_pk_add_f32 v[30:31], v[30:31], v[94:95]
	v_pk_add_f32 v[38:39], v[80:81], v[34:35] neg_lo:[0,1] neg_hi:[0,1]
	s_waitcnt lgkmcnt(1)
	v_pk_add_f32 v[30:31], v[30:31], v[96:97]
	s_waitcnt lgkmcnt(0)
	v_pk_add_f32 v[86:87], v[102:103], v[92:93]
	v_pk_add_f32 v[30:31], v[30:31], v[98:99]
	v_pk_add_f32 v[104:105], v[92:93], v[102:103] neg_lo:[0,1] neg_hi:[0,1]
	v_pk_add_f32 v[30:31], v[30:31], v[100:101]
	v_mov_b32_e32 v93, v89
	v_pk_add_f32 v[30:31], v[30:31], v[102:103]
	v_mov_b32_e32 v89, v38
	;; [unrolled: 2-line block ×3, first 2 shown]
	v_pk_add_f32 v[66:67], v[30:31], v[36:37]
	v_pk_mul_f32 v[30:31], v[90:91], s[10:11]
	v_pk_mul_f32 v[38:39], v[88:89], s[26:27]
	v_pk_fma_f32 v[34:35], v[82:83], s[0:1], v[30:31] neg_lo:[1,0,0] neg_hi:[1,0,0]
	v_pk_fma_f32 v[36:37], v[82:83], s[0:1], v[30:31]
	v_pk_fma_f32 v[78:79], v[92:93], s[12:13], v[38:39] neg_lo:[1,0,0] neg_hi:[1,0,0]
	v_mov_b32_e32 v35, v37
	v_pk_fma_f32 v[80:81], v[92:93], s[12:13], v[38:39]
	v_pk_add_f32 v[84:85], v[100:101], v[94:95]
	v_pk_add_f32 v[110:111], v[94:95], v[100:101] neg_lo:[0,1] neg_hi:[0,1]
	v_pk_add_f32 v[34:35], v[74:75], v[34:35]
	v_mov_b32_e32 v79, v81
	v_mov_b32_e32 v95, v87
	;; [unrolled: 1-line block ×3, first 2 shown]
	v_pk_add_f32 v[34:35], v[78:79], v[34:35]
	v_mov_b32_e32 v94, v105
	v_pk_mul_f32 v[78:79], v[86:87], s[14:15]
	v_pk_add_f32 v[76:77], v[98:99], v[96:97]
	v_pk_add_f32 v[112:113], v[96:97], v[98:99] neg_lo:[0,1] neg_hi:[0,1]
	v_pk_fma_f32 v[96:97], v[94:95], s[16:17], v[78:79] neg_lo:[1,0,0] neg_hi:[1,0,0]
	v_pk_fma_f32 v[100:101], v[94:95], s[16:17], v[78:79]
	v_mov_b32_e32 v99, v85
	v_mov_b32_e32 v97, v101
	;; [unrolled: 1-line block ×3, first 2 shown]
	v_pk_add_f32 v[34:35], v[96:97], v[34:35]
	v_mov_b32_e32 v98, v111
	v_pk_mul_f32 v[96:97], v[84:85], s[22:23]
	v_pk_fma_f32 v[30:31], v[82:83], s[0:1], v[30:31] neg_lo:[0,0,1] neg_hi:[0,0,1]
	v_pk_fma_f32 v[102:103], v[98:99], s[18:19], v[96:97] neg_lo:[1,0,0] neg_hi:[1,0,0]
	v_pk_fma_f32 v[104:105], v[98:99], s[18:19], v[96:97]
	v_mov_b32_e32 v37, v31
	v_mov_b32_e32 v103, v105
	v_pk_add_f32 v[30:31], v[74:75], v[36:37]
	v_pk_fma_f32 v[36:37], v[92:93], s[12:13], v[38:39] neg_lo:[0,0,1] neg_hi:[0,0,1]
	v_pk_add_f32 v[34:35], v[102:103], v[34:35]
	v_mov_b32_e32 v102, v113
	v_mov_b32_e32 v103, v77
	;; [unrolled: 1-line block ×3, first 2 shown]
	v_pk_fma_f32 v[36:37], v[94:95], s[16:17], v[78:79] neg_lo:[0,0,1] neg_hi:[0,0,1]
	v_pk_mul_f32 v[110:111], v[102:103], s[20:21]
	v_mov_b32_e32 v77, v112
	v_pk_add_f32 v[30:31], v[80:81], v[30:31]
	v_mov_b32_e32 v101, v37
	v_pk_fma_f32 v[36:37], v[98:99], s[18:19], v[96:97] neg_lo:[0,0,1] neg_hi:[0,0,1]
	v_pk_add_f32 v[30:31], v[100:101], v[30:31]
	v_mov_b32_e32 v105, v37
	v_pk_fma_f32 v[36:37], v[76:77], s[24:25], v[110:111]
	v_pk_fma_f32 v[38:39], v[76:77], s[24:25], v[110:111] neg_lo:[1,0,0] neg_hi:[1,0,0]
	v_pk_add_f32 v[30:31], v[104:105], v[30:31]
	v_mov_b32_e32 v38, v36
	v_pk_add_f32 v[30:31], v[38:39], v[30:31]
	v_pk_fma_f32 v[38:39], v[76:77], s[24:25], v[110:111] neg_lo:[0,0,1] neg_hi:[0,0,1]
	v_pk_mul_f32 v[80:81], v[88:89], s[22:23]
	v_mov_b32_e32 v39, v37
	v_pk_add_f32 v[38:39], v[38:39], v[34:35]
	v_pk_mul_f32 v[34:35], v[90:91], s[26:27]
	v_pk_fma_f32 v[96:97], v[92:93], s[18:19], v[80:81] neg_lo:[1,0,0] neg_hi:[1,0,0]
	v_pk_fma_f32 v[36:37], v[82:83], s[12:13], v[34:35] neg_lo:[1,0,0] neg_hi:[1,0,0]
	v_pk_fma_f32 v[78:79], v[82:83], s[12:13], v[34:35]
	v_pk_fma_f32 v[34:35], v[82:83], s[12:13], v[34:35] neg_lo:[0,0,1] neg_hi:[0,0,1]
	v_mov_b32_e32 v37, v79
	v_pk_fma_f32 v[100:101], v[92:93], s[18:19], v[80:81]
	v_pk_mul_f32 v[104:105], v[86:87], s[34:35]
	v_mov_b32_e32 v79, v35
	v_pk_fma_f32 v[34:35], v[92:93], s[18:19], v[80:81] neg_lo:[0,0,1] neg_hi:[0,0,1]
	v_mov_b32_e32 v97, v101
	v_pk_fma_f32 v[110:111], v[94:95], s[38:39], v[104:105] neg_lo:[1,0,0] neg_hi:[1,0,0]
	v_pk_fma_f32 v[112:113], v[94:95], s[38:39], v[104:105]
	v_pk_mul_f32 v[114:115], v[84:85], s[36:37]
	v_mov_b32_e32 v101, v35
	v_pk_fma_f32 v[34:35], v[94:95], s[38:39], v[104:105] neg_lo:[0,0,1] neg_hi:[0,0,1]
	v_mov_b32_e32 v111, v113
	v_pk_fma_f32 v[116:117], v[98:99], s[30:31], v[114:115] neg_lo:[1,0,0] neg_hi:[1,0,0]
	v_pk_fma_f32 v[118:119], v[98:99], s[30:31], v[114:115]
	v_pk_add_f32 v[36:37], v[74:75], v[36:37]
	v_mov_b32_e32 v113, v35
	v_pk_fma_f32 v[34:35], v[98:99], s[30:31], v[114:115] neg_lo:[0,0,1] neg_hi:[0,0,1]
	v_mov_b32_e32 v117, v119
	v_pk_add_f32 v[36:37], v[96:97], v[36:37]
	s_mov_b32 s26, 0x3f0a6770
	s_mov_b32 s27, s1
	v_mov_b32_e32 v119, v35
	v_pk_add_f32 v[34:35], v[74:75], v[78:79]
	v_pk_add_f32 v[36:37], v[110:111], v[36:37]
	v_pk_mul_f32 v[110:111], v[102:103], s[26:27]
	s_mov_b32 s29, s26
	v_pk_add_f32 v[34:35], v[100:101], v[34:35]
	v_pk_add_f32 v[96:97], v[116:117], v[36:37]
	;; [unrolled: 1-line block ×3, first 2 shown]
	v_pk_fma_f32 v[78:79], v[76:77], s[28:29], v[110:111]
	v_pk_fma_f32 v[36:37], v[76:77], s[28:29], v[110:111] neg_lo:[1,0,0] neg_hi:[1,0,0]
	v_pk_add_f32 v[34:35], v[118:119], v[34:35]
	v_mov_b32_e32 v36, v78
	v_pk_add_f32 v[36:37], v[36:37], v[34:35]
	v_pk_fma_f32 v[34:35], v[76:77], s[28:29], v[110:111] neg_lo:[0,0,1] neg_hi:[0,0,1]
	s_mov_b32 s12, 0x3f68dda4
	v_mov_b32_e32 v35, v79
	v_pk_mul_f32 v[78:79], v[90:91], s[14:15]
	v_pk_add_f32 v[34:35], v[34:35], v[96:97]
	v_pk_fma_f32 v[80:81], v[82:83], s[16:17], v[78:79] neg_lo:[1,0,0] neg_hi:[1,0,0]
	v_pk_fma_f32 v[96:97], v[82:83], s[16:17], v[78:79]
	v_pk_mul_f32 v[100:101], v[88:89], s[34:35]
	s_mov_b32 s34, s13
	s_mov_b32 s35, s12
	v_pk_fma_f32 v[78:79], v[82:83], s[16:17], v[78:79] neg_lo:[0,0,1] neg_hi:[0,0,1]
	v_mov_b32_e32 v81, v97
	v_pk_fma_f32 v[104:105], v[92:93], s[38:39], v[100:101] neg_lo:[1,0,0] neg_hi:[1,0,0]
	v_pk_fma_f32 v[110:111], v[92:93], s[38:39], v[100:101]
	v_pk_mul_f32 v[112:113], v[86:87], s[34:35]
	v_mov_b32_e32 v97, v79
	v_pk_fma_f32 v[78:79], v[92:93], s[38:39], v[100:101] neg_lo:[0,0,1] neg_hi:[0,0,1]
	v_mov_b32_e32 v105, v111
	v_pk_fma_f32 v[114:115], v[94:95], s[12:13], v[112:113] neg_lo:[1,0,0] neg_hi:[1,0,0]
	v_pk_fma_f32 v[116:117], v[94:95], s[12:13], v[112:113]
	v_pk_mul_f32 v[118:119], v[84:85], s[10:11]
	v_mov_b32_e32 v111, v79
	v_pk_fma_f32 v[78:79], v[94:95], s[12:13], v[112:113] neg_lo:[0,0,1] neg_hi:[0,0,1]
	v_mov_b32_e32 v115, v117
	v_pk_fma_f32 v[120:121], v[98:99], s[0:1], v[118:119] neg_lo:[1,0,0] neg_hi:[1,0,0]
	v_pk_fma_f32 v[122:123], v[98:99], s[0:1], v[118:119]
	v_mov_b32_e32 v117, v79
	v_pk_fma_f32 v[78:79], v[98:99], s[0:1], v[118:119] neg_lo:[0,0,1] neg_hi:[0,0,1]
	v_mov_b32_e32 v121, v123
	v_pk_add_f32 v[80:81], v[74:75], v[80:81]
	v_mov_b32_e32 v123, v79
	v_pk_add_f32 v[78:79], v[74:75], v[96:97]
	v_pk_add_f32 v[80:81], v[104:105], v[80:81]
	v_pk_mul_f32 v[104:105], v[102:103], s[18:19]
	v_pk_add_f32 v[78:79], v[110:111], v[78:79]
	v_pk_fma_f32 v[96:97], v[76:77], s[22:23], v[104:105]
	v_pk_add_f32 v[78:79], v[116:117], v[78:79]
	v_pk_fma_f32 v[100:101], v[76:77], s[22:23], v[104:105] neg_lo:[1,0,0] neg_hi:[1,0,0]
	v_pk_add_f32 v[78:79], v[122:123], v[78:79]
	v_mov_b32_e32 v100, v96
	v_pk_add_f32 v[80:81], v[114:115], v[80:81]
	v_pk_add_f32 v[78:79], v[100:101], v[78:79]
	v_pk_fma_f32 v[100:101], v[76:77], s[22:23], v[104:105] neg_lo:[0,0,1] neg_hi:[0,0,1]
	v_pk_add_f32 v[80:81], v[120:121], v[80:81]
	v_mov_b32_e32 v101, v97
	v_pk_mul_f32 v[96:97], v[90:91], s[22:23]
	v_pk_add_f32 v[80:81], v[100:101], v[80:81]
	v_pk_fma_f32 v[100:101], v[82:83], s[18:19], v[96:97] neg_lo:[1,0,0] neg_hi:[1,0,0]
	v_pk_fma_f32 v[104:105], v[82:83], s[18:19], v[96:97]
	v_pk_mul_f32 v[110:111], v[88:89], s[36:37]
	v_pk_fma_f32 v[96:97], v[82:83], s[18:19], v[96:97] neg_lo:[0,0,1] neg_hi:[0,0,1]
	v_mov_b32_e32 v101, v105
	v_pk_fma_f32 v[112:113], v[92:93], s[30:31], v[110:111] neg_lo:[1,0,0] neg_hi:[1,0,0]
	v_pk_fma_f32 v[114:115], v[92:93], s[30:31], v[110:111]
	v_pk_mul_f32 v[116:117], v[86:87], s[10:11]
	v_mov_b32_e32 v105, v97
	v_pk_fma_f32 v[96:97], v[92:93], s[30:31], v[110:111] neg_lo:[0,0,1] neg_hi:[0,0,1]
	v_mov_b32_e32 v113, v115
	v_pk_fma_f32 v[118:119], v[94:95], s[0:1], v[116:117] neg_lo:[1,0,0] neg_hi:[1,0,0]
	v_pk_fma_f32 v[120:121], v[94:95], s[0:1], v[116:117]
	v_pk_mul_f32 v[122:123], v[84:85], s[24:25]
	v_mov_b32_e32 v115, v97
	v_pk_fma_f32 v[96:97], v[94:95], s[0:1], v[116:117] neg_lo:[0,0,1] neg_hi:[0,0,1]
	v_mov_b32_e32 v119, v121
	v_pk_fma_f32 v[124:125], v[98:99], s[20:21], v[122:123] neg_lo:[1,0,0] neg_hi:[1,0,0]
	v_pk_fma_f32 v[126:127], v[98:99], s[20:21], v[122:123]
	v_pk_add_f32 v[100:101], v[74:75], v[100:101]
	v_mov_b32_e32 v121, v97
	v_pk_fma_f32 v[96:97], v[98:99], s[20:21], v[122:123] neg_lo:[0,0,1] neg_hi:[0,0,1]
	v_mov_b32_e32 v125, v127
	v_pk_add_f32 v[100:101], v[112:113], v[100:101]
	v_mov_b32_e32 v127, v97
	v_pk_add_f32 v[96:97], v[74:75], v[104:105]
	v_pk_add_f32 v[100:101], v[118:119], v[100:101]
	v_pk_mul_f32 v[118:119], v[102:103], s[12:13]
	v_pk_add_f32 v[96:97], v[114:115], v[96:97]
	v_pk_add_f32 v[112:113], v[124:125], v[100:101]
	;; [unrolled: 1-line block ×3, first 2 shown]
	v_pk_fma_f32 v[104:105], v[76:77], s[34:35], v[118:119]
	v_pk_fma_f32 v[100:101], v[76:77], s[34:35], v[118:119] neg_lo:[1,0,0] neg_hi:[1,0,0]
	v_pk_add_f32 v[96:97], v[126:127], v[96:97]
	v_mov_b32_e32 v100, v104
	v_pk_add_f32 v[100:101], v[100:101], v[96:97]
	v_pk_fma_f32 v[96:97], v[76:77], s[34:35], v[118:119] neg_lo:[0,0,1] neg_hi:[0,0,1]
	v_pk_mul_f32 v[90:91], v[90:91], s[24:25]
	v_mov_b32_e32 v97, v105
	v_pk_fma_f32 v[104:105], v[82:83], s[20:21], v[90:91] neg_lo:[1,0,0] neg_hi:[1,0,0]
	v_pk_fma_f32 v[110:111], v[82:83], s[20:21], v[90:91]
	v_pk_mul_f32 v[88:89], v[88:89], s[28:29]
	v_pk_fma_f32 v[82:83], v[82:83], s[20:21], v[90:91] neg_lo:[0,0,1] neg_hi:[0,0,1]
	v_pk_add_f32 v[96:97], v[96:97], v[112:113]
	v_mov_b32_e32 v105, v111
	v_pk_fma_f32 v[112:113], v[92:93], s[26:27], v[88:89] neg_lo:[1,0,0] neg_hi:[1,0,0]
	v_pk_fma_f32 v[114:115], v[92:93], s[26:27], v[88:89]
	v_pk_mul_f32 v[86:87], v[86:87], s[22:23]
	v_mov_b32_e32 v111, v83
	v_pk_fma_f32 v[82:83], v[92:93], s[26:27], v[88:89] neg_lo:[0,0,1] neg_hi:[0,0,1]
	v_mov_b32_e32 v113, v115
	v_pk_fma_f32 v[116:117], v[94:95], s[18:19], v[86:87] neg_lo:[1,0,0] neg_hi:[1,0,0]
	v_pk_fma_f32 v[118:119], v[94:95], s[18:19], v[86:87]
	v_pk_mul_f32 v[84:85], v[84:85], s[34:35]
	v_pk_add_f32 v[104:105], v[74:75], v[104:105]
	v_mov_b32_e32 v115, v83
	v_pk_fma_f32 v[82:83], v[94:95], s[18:19], v[86:87] neg_lo:[0,0,1] neg_hi:[0,0,1]
	v_pk_add_f32 v[74:75], v[74:75], v[110:111]
	v_mov_b32_e32 v117, v119
	v_pk_fma_f32 v[120:121], v[98:99], s[12:13], v[84:85] neg_lo:[1,0,0] neg_hi:[1,0,0]
	v_pk_fma_f32 v[122:123], v[98:99], s[12:13], v[84:85]
	v_pk_add_f32 v[104:105], v[112:113], v[104:105]
	v_pk_mul_f32 v[102:103], v[102:103], s[16:17]
	v_mov_b32_e32 v119, v83
	v_pk_fma_f32 v[82:83], v[98:99], s[12:13], v[84:85] neg_lo:[0,0,1] neg_hi:[0,0,1]
	v_pk_add_f32 v[74:75], v[114:115], v[74:75]
	v_mov_b32_e32 v121, v123
	v_pk_add_f32 v[104:105], v[116:117], v[104:105]
	v_mov_b32_e32 v123, v83
	v_pk_add_f32 v[74:75], v[118:119], v[74:75]
	v_pk_fma_f32 v[82:83], v[76:77], s[14:15], v[102:103]
	v_pk_fma_f32 v[84:85], v[76:77], s[14:15], v[102:103] neg_lo:[1,0,0] neg_hi:[1,0,0]
	v_pk_fma_f32 v[76:77], v[76:77], s[14:15], v[102:103] neg_lo:[0,0,1] neg_hi:[0,0,1]
	v_pk_add_f32 v[104:105], v[120:121], v[104:105]
	v_pk_add_f32 v[74:75], v[122:123], v[74:75]
	v_mov_b32_e32 v84, v82
	v_mov_b32_e32 v77, v83
	v_pk_add_f32 v[74:75], v[84:85], v[74:75]
	v_pk_add_f32 v[76:77], v[76:77], v[104:105]
	s_waitcnt lgkmcnt(0)
	; wave barrier
	ds_write2_b64 v108, v[66:67], v[30:31] offset1:1
	ds_write2_b64 v108, v[36:37], v[78:79] offset0:2 offset1:3
	ds_write2_b64 v108, v[100:101], v[74:75] offset0:4 offset1:5
	ds_write2_b64 v108, v[76:77], v[96:97] offset0:6 offset1:7
	ds_write2_b64 v108, v[80:81], v[34:35] offset0:8 offset1:9
	ds_write_b64 v108, v[38:39] offset:80
	s_waitcnt lgkmcnt(0)
	; wave barrier
	s_waitcnt lgkmcnt(0)
	s_and_saveexec_b64 s[0:1], s[2:3]
	s_xor_b64 s[0:1], exec, s[0:1]
	s_andn2_saveexec_b64 s[0:1], s[0:1]
	s_cbranch_execz .LBB0_9
; %bb.8:
	ds_read2_b64 v[82:85], v57 offset0:11 offset1:22
	ds_read2_b64 v[86:89], v57 offset0:33 offset1:44
	;; [unrolled: 1-line block ×3, first 2 shown]
	ds_read_b64 v[66:67], v107
	ds_read_b64 v[40:41], v57 offset:1320
	ds_read2_b64 v[32:35], v57 offset0:143 offset1:154
	ds_read2_b64 v[78:81], v57 offset0:77 offset1:88
	;; [unrolled: 1-line block ×4, first 2 shown]
	s_waitcnt lgkmcnt(4)
	v_mov_b32_e32 v72, v41
	s_waitcnt lgkmcnt(3)
	v_mov_b32_e32 v73, v35
	v_mov_b32_e32 v70, v33
	s_waitcnt lgkmcnt(1)
	v_mov_b32_e32 v71, v31
	v_mov_b32_e32 v41, v34
	;; [unrolled: 1-line block ×3, first 2 shown]
	s_waitcnt lgkmcnt(0)
	v_mov_b64_e32 v[34:35], v[36:37]
	v_mov_b64_e32 v[96:97], v[78:79]
	;; [unrolled: 1-line block ×6, first 2 shown]
.LBB0_9:
	s_or_b64 exec, exec, s[0:1]
	s_and_saveexec_b64 s[0:1], vcc
	s_cbranch_execz .LBB0_11
; %bb.10:
	v_pk_mul_f32 v[86:87], v[10:11], v[76:77] op_sel:[0,1]
	v_pk_mul_f32 v[88:89], v[6:7], v[72:73] op_sel:[0,1]
	v_pk_fma_f32 v[114:115], v[10:11], v[76:77], v[86:87] op_sel:[0,0,1] op_sel_hi:[1,1,0]
	v_pk_fma_f32 v[10:11], v[10:11], v[76:77], v[86:87] op_sel:[0,0,1] op_sel_hi:[1,0,0] neg_lo:[1,0,0] neg_hi:[1,0,0]
	v_pk_mul_f32 v[82:83], v[2:3], v[36:37] op_sel:[0,1]
	v_mov_b32_e32 v115, v11
	v_pk_fma_f32 v[10:11], v[6:7], v[40:41], v[88:89] op_sel:[0,1,1] op_sel_hi:[1,1,0]
	v_pk_fma_f32 v[6:7], v[6:7], v[40:41], v[88:89] op_sel:[0,1,1] op_sel_hi:[1,1,0] neg_lo:[1,0,0] neg_hi:[1,0,0]
	v_pk_mul_f32 v[84:85], v[18:19], v[38:39] op_sel:[0,1]
	v_mov_b32_e32 v11, v7
	v_pk_add_f32 v[6:7], v[114:115], v[10:11] neg_lo:[0,1] neg_hi:[0,1]
	v_pk_fma_f32 v[10:11], v[2:3], v[36:37], v[82:83] op_sel:[0,0,1] op_sel_hi:[1,1,0]
	v_pk_fma_f32 v[2:3], v[2:3], v[36:37], v[82:83] op_sel:[0,0,1] op_sel_hi:[1,0,0] neg_lo:[1,0,0] neg_hi:[1,0,0]
	v_pk_mul_f32 v[92:93], v[14:15], v[100:101] op_sel:[0,1]
	v_mov_b32_e32 v11, v3
	v_pk_fma_f32 v[2:3], v[18:19], v[38:39], v[84:85] op_sel:[0,0,1] op_sel_hi:[1,1,0]
	v_pk_fma_f32 v[18:19], v[18:19], v[38:39], v[84:85] op_sel:[0,0,1] op_sel_hi:[1,0,0] neg_lo:[1,0,0] neg_hi:[1,0,0]
	v_pk_mul_f32 v[94:95], v[26:27], v[70:71] op_sel:[0,1]
	v_mov_b32_e32 v3, v19
	;; [unrolled: 4-line block ×4, first 2 shown]
	v_pk_fma_f32 v[26:27], v[22:23], v[80:81], v[90:91] op_sel:[0,0,1] op_sel_hi:[1,1,0]
	v_pk_fma_f32 v[22:23], v[22:23], v[80:81], v[90:91] op_sel:[0,0,1] op_sel_hi:[1,0,0] neg_lo:[1,0,0] neg_hi:[1,0,0]
	v_pk_mul_f32 v[72:73], v[68:69], v[72:73] op_sel_hi:[1,0]
	v_mov_b32_e32 v27, v23
	v_pk_add_f32 v[22:23], v[66:67], v[26:27] neg_lo:[0,1] neg_hi:[0,1]
	v_pk_fma_f32 v[26:27], v[20:21], v[96:97], v[104:105] op_sel:[0,0,1] op_sel_hi:[1,1,0]
	v_pk_fma_f32 v[20:21], v[20:21], v[96:97], v[104:105] op_sel:[0,0,1] op_sel_hi:[1,0,0] neg_lo:[1,0,0] neg_hi:[1,0,0]
	v_pk_mul_f32 v[98:99], v[12:13], v[78:79] op_sel:[0,1]
	v_mov_b32_e32 v102, v29
	v_mov_b32_e32 v27, v21
	v_pk_fma_f32 v[20:21], v[68:69], v[40:41], v[72:73] op_sel:[0,0,1] op_sel_hi:[1,1,0]
	v_pk_fma_f32 v[36:37], v[68:69], v[40:41], v[72:73] op_sel:[0,0,1] op_sel_hi:[1,0,0] neg_lo:[1,0,0] neg_hi:[1,0,0]
	v_pk_mul_f32 v[102:103], v[24:25], v[102:103] op_sel_hi:[1,0]
	v_mov_b32_e32 v21, v37
	v_pk_fma_f32 v[36:37], v[12:13], v[78:79], v[98:99] op_sel:[0,0,1] op_sel_hi:[1,1,0]
	v_pk_fma_f32 v[12:13], v[12:13], v[78:79], v[98:99] op_sel:[0,0,1] op_sel_hi:[1,0,0] neg_lo:[1,0,0] neg_hi:[1,0,0]
	v_pk_mul_f32 v[112:113], v[8:9], v[74:75] op_sel:[0,1]
	v_mov_b32_e32 v37, v13
	v_pk_fma_f32 v[12:13], v[24:25], v[28:29], v[102:103] op_sel:[0,0,1] op_sel_hi:[1,1,0]
	v_pk_fma_f32 v[24:25], v[24:25], v[28:29], v[102:103] op_sel:[0,0,1] op_sel_hi:[1,0,0] neg_lo:[1,0,0] neg_hi:[1,0,0]
	v_pk_mul_f32 v[70:71], v[4:5], v[70:71] op_sel_hi:[1,0]
	v_mov_b32_e32 v13, v25
	v_pk_fma_f32 v[24:25], v[8:9], v[74:75], v[112:113] op_sel:[0,0,1] op_sel_hi:[1,1,0]
	v_pk_fma_f32 v[8:9], v[8:9], v[74:75], v[112:113] op_sel:[0,0,1] op_sel_hi:[1,0,0] neg_lo:[1,0,0] neg_hi:[1,0,0]
	v_pk_mul_f32 v[108:109], v[0:1], v[30:31] op_sel:[0,1]
	v_mov_b32_e32 v25, v9
	v_pk_fma_f32 v[8:9], v[4:5], v[32:33], v[70:71] op_sel:[0,0,1] op_sel_hi:[1,1,0]
	v_pk_fma_f32 v[4:5], v[4:5], v[32:33], v[70:71] op_sel:[0,0,1] op_sel_hi:[1,0,0] neg_lo:[1,0,0] neg_hi:[1,0,0]
	v_pk_mul_f32 v[110:111], v[16:17], v[34:35] op_sel:[0,1]
	v_mov_b32_e32 v9, v5
	v_pk_add_f32 v[4:5], v[24:25], v[8:9] neg_lo:[0,1] neg_hi:[0,1]
	v_pk_fma_f32 v[8:9], v[0:1], v[30:31], v[108:109] op_sel:[0,0,1] op_sel_hi:[1,1,0]
	v_pk_fma_f32 v[0:1], v[0:1], v[30:31], v[108:109] op_sel:[0,0,1] op_sel_hi:[1,0,0] neg_lo:[1,0,0] neg_hi:[1,0,0]
	v_pk_add_f32 v[2:3], v[10:11], v[2:3] neg_lo:[0,1] neg_hi:[0,1]
	v_mov_b32_e32 v9, v1
	v_pk_fma_f32 v[0:1], v[16:17], v[34:35], v[110:111] op_sel:[0,0,1] op_sel_hi:[1,1,0]
	v_pk_fma_f32 v[16:17], v[16:17], v[34:35], v[110:111] op_sel:[0,0,1] op_sel_hi:[1,0,0] neg_lo:[1,0,0] neg_hi:[1,0,0]
	v_pk_add_f32 v[14:15], v[18:19], v[14:15] neg_lo:[0,1] neg_hi:[0,1]
	v_mov_b32_e32 v1, v17
	v_pk_add_f32 v[20:21], v[26:27], v[20:21] neg_lo:[0,1] neg_hi:[0,1]
	v_pk_add_f32 v[12:13], v[36:37], v[12:13] neg_lo:[0,1] neg_hi:[0,1]
	;; [unrolled: 1-line block ×3, first 2 shown]
	v_pk_fma_f32 v[10:11], v[10:11], 2.0, v[2:3] op_sel_hi:[1,0,1] neg_lo:[0,0,1] neg_hi:[0,0,1]
	v_pk_fma_f32 v[16:17], v[114:115], 2.0, v[6:7] op_sel_hi:[1,0,1] neg_lo:[0,0,1] neg_hi:[0,0,1]
	;; [unrolled: 1-line block ×8, first 2 shown]
	v_pk_add_f32 v[16:17], v[10:11], v[16:17] neg_lo:[0,1] neg_hi:[0,1]
	v_pk_add_f32 v[18:19], v[28:29], v[18:19] neg_lo:[0,1] neg_hi:[0,1]
	;; [unrolled: 1-line block ×4, first 2 shown]
	v_pk_fma_f32 v[28:29], v[28:29], 2.0, v[18:19] op_sel_hi:[1,0,1] neg_lo:[0,0,1] neg_hi:[0,0,1]
	v_pk_fma_f32 v[10:11], v[10:11], 2.0, v[16:17] op_sel_hi:[1,0,1] neg_lo:[0,0,1] neg_hi:[0,0,1]
	v_pk_fma_f32 v[8:9], v[8:9], 2.0, v[24:25] op_sel_hi:[1,0,1] neg_lo:[0,0,1] neg_hi:[0,0,1]
	v_pk_fma_f32 v[30:31], v[30:31], 2.0, v[26:27] op_sel_hi:[1,0,1] neg_lo:[0,0,1] neg_hi:[0,0,1]
	v_pk_add_f32 v[10:11], v[28:29], v[10:11] neg_lo:[0,1] neg_hi:[0,1]
	v_pk_add_f32 v[30:31], v[8:9], v[30:31] neg_lo:[0,1] neg_hi:[0,1]
	v_pk_fma_f32 v[28:29], v[28:29], 2.0, v[10:11] op_sel_hi:[1,0,1] neg_lo:[0,0,1] neg_hi:[0,0,1]
	v_pk_fma_f32 v[8:9], v[8:9], 2.0, v[30:31] op_sel_hi:[1,0,1] neg_lo:[0,0,1] neg_hi:[0,0,1]
	s_mov_b32 s2, 0x3f3504f3
	v_pk_add_f32 v[8:9], v[28:29], v[8:9] neg_lo:[0,1] neg_hi:[0,1]
	s_mov_b32 s10, 0x3ec3ef15
	v_pk_fma_f32 v[28:29], v[28:29], 2.0, v[8:9] op_sel_hi:[1,0,1] neg_lo:[0,0,1] neg_hi:[0,0,1]
	ds_write_b64 v107, v[28:29]
	v_pk_add_f32 v[28:29], v[2:3], v[6:7] op_sel:[0,1] op_sel_hi:[1,0]
	v_pk_add_f32 v[6:7], v[2:3], v[6:7] op_sel:[0,1] op_sel_hi:[1,0] neg_lo:[0,1] neg_hi:[0,1]
	s_mov_b32 s12, 0x3f6c835e
	v_mov_b32_e32 v29, v7
	v_pk_add_f32 v[6:7], v[22:23], v[14:15] op_sel:[0,1] op_sel_hi:[1,0]
	v_pk_add_f32 v[14:15], v[22:23], v[14:15] op_sel:[0,1] op_sel_hi:[1,0] neg_lo:[0,1] neg_hi:[0,1]
	v_pk_fma_f32 v[2:3], v[2:3], 2.0, v[28:29] op_sel_hi:[1,0,1] neg_lo:[0,0,1] neg_hi:[0,0,1]
	v_mov_b32_e32 v7, v15
	v_pk_add_f32 v[14:15], v[12:13], v[20:21] op_sel:[0,1] op_sel_hi:[1,0]
	v_pk_add_f32 v[20:21], v[12:13], v[20:21] op_sel:[0,1] op_sel_hi:[1,0] neg_lo:[0,1] neg_hi:[0,1]
	v_pk_fma_f32 v[22:23], v[22:23], 2.0, v[6:7] op_sel_hi:[1,0,1] neg_lo:[0,0,1] neg_hi:[0,0,1]
	v_mov_b32_e32 v15, v21
	v_pk_add_f32 v[20:21], v[0:1], v[4:5] op_sel:[0,1] op_sel_hi:[1,0]
	v_pk_add_f32 v[4:5], v[0:1], v[4:5] op_sel:[0,1] op_sel_hi:[1,0] neg_lo:[0,1] neg_hi:[0,1]
	s_nop 0
	v_mov_b32_e32 v21, v5
	v_pk_mul_f32 v[4:5], v[2:3], s[2:3] op_sel_hi:[1,0]
	v_pk_fma_f32 v[2:3], v[2:3], s[2:3], v[22:23] op_sel_hi:[1,0,1] neg_lo:[1,0,0] neg_hi:[1,0,0]
	v_pk_fma_f32 v[0:1], v[0:1], 2.0, v[20:21] op_sel_hi:[1,0,1] neg_lo:[0,0,1] neg_hi:[0,0,1]
	v_pk_add_f32 v[32:33], v[2:3], v[4:5] op_sel:[0,1] op_sel_hi:[1,0]
	v_pk_add_f32 v[2:3], v[2:3], v[4:5] op_sel:[0,1] op_sel_hi:[1,0] neg_lo:[0,1] neg_hi:[0,1]
	v_pk_fma_f32 v[4:5], v[12:13], 2.0, v[14:15] op_sel_hi:[1,0,1] neg_lo:[0,0,1] neg_hi:[0,0,1]
	v_mov_b32_e32 v33, v3
	v_pk_mul_f32 v[12:13], v[4:5], s[2:3] op_sel_hi:[1,0]
	v_pk_fma_f32 v[4:5], v[4:5], s[2:3], v[0:1] op_sel_hi:[1,0,1] neg_lo:[1,0,0] neg_hi:[1,0,0]
	s_nop 0
	v_pk_add_f32 v[34:35], v[4:5], v[12:13] op_sel:[0,1] op_sel_hi:[1,0]
	v_pk_add_f32 v[4:5], v[4:5], v[12:13] op_sel:[0,1] op_sel_hi:[1,0] neg_lo:[0,1] neg_hi:[0,1]
	v_fmamk_f32 v12, v34, 0x3ec3ef15, v32
	v_mov_b32_e32 v35, v5
	v_fmamk_f32 v2, v5, 0x3ec3ef15, v3
	v_fmac_f32_e32 v12, 0x3f6c835e, v5
	v_pk_fma_f32 v[0:1], v[0:1], 2.0, v[34:35] op_sel_hi:[1,0,1] neg_lo:[0,0,1] neg_hi:[0,0,1]
	v_pk_fma_f32 v[4:5], v[22:23], 2.0, v[32:33] op_sel_hi:[1,0,1] neg_lo:[0,0,1] neg_hi:[0,0,1]
	v_pk_mul_f32 v[22:23], v[0:1], s[10:11] op_sel_hi:[1,0]
	v_pk_fma_f32 v[0:1], v[0:1], s[12:13], v[4:5] op_sel_hi:[1,0,1] neg_lo:[1,0,0] neg_hi:[1,0,0]
	v_fmamk_f32 v13, v34, 0xbf6c835e, v2
	v_fma_f32 v2, v32, 2.0, -v12
	v_pk_add_f32 v[32:33], v[0:1], v[22:23] op_sel:[0,1] op_sel_hi:[1,0]
	v_pk_add_f32 v[0:1], v[0:1], v[22:23] op_sel:[0,1] op_sel_hi:[1,0] neg_lo:[0,1] neg_hi:[0,1]
	v_pk_add_f32 v[22:23], v[24:25], v[26:27] op_sel:[0,1] op_sel_hi:[1,0] neg_lo:[0,1] neg_hi:[0,1]
	v_mov_b32_e32 v33, v1
	v_pk_fma_f32 v[0:1], v[4:5], 2.0, v[32:33] op_sel_hi:[1,0,1] neg_lo:[0,0,1] neg_hi:[0,0,1]
	v_pk_add_f32 v[4:5], v[18:19], v[16:17] op_sel:[0,1] op_sel_hi:[1,0]
	v_pk_add_f32 v[16:17], v[18:19], v[16:17] op_sel:[0,1] op_sel_hi:[1,0] neg_lo:[0,1] neg_hi:[0,1]
	v_fma_f32 v3, v3, 2.0, -v13
	v_mov_b32_e32 v5, v17
	v_pk_add_f32 v[16:17], v[24:25], v[26:27] op_sel:[0,1] op_sel_hi:[1,0]
	v_pk_fma_f32 v[18:19], v[18:19], 2.0, v[4:5] op_sel_hi:[1,0,1] neg_lo:[0,0,1] neg_hi:[0,0,1]
	v_mov_b32_e32 v17, v23
	v_pk_fma_f32 v[22:23], v[24:25], 2.0, v[16:17] op_sel_hi:[1,0,1] neg_lo:[0,0,1] neg_hi:[0,0,1]
	s_nop 0
	v_pk_mul_f32 v[24:25], v[22:23], s[2:3] op_sel_hi:[1,0]
	v_pk_fma_f32 v[22:23], v[22:23], s[2:3], v[18:19] op_sel_hi:[1,0,1] neg_lo:[1,0,0] neg_hi:[1,0,0]
	s_nop 0
	v_pk_add_f32 v[26:27], v[22:23], v[24:25] op_sel:[0,1] op_sel_hi:[1,0]
	v_pk_add_f32 v[22:23], v[22:23], v[24:25] op_sel:[0,1] op_sel_hi:[1,0] neg_lo:[0,1] neg_hi:[0,1]
	s_nop 0
	v_mov_b32_e32 v27, v23
	v_pk_fma_f32 v[18:19], v[18:19], 2.0, v[26:27] op_sel_hi:[1,0,1] neg_lo:[0,0,1] neg_hi:[0,0,1]
	ds_write2_b64 v57, v[0:1], v[18:19] offset0:11 offset1:22
	v_pk_mul_f32 v[0:1], v[28:29], s[2:3] op_sel_hi:[1,0]
	v_pk_fma_f32 v[18:19], v[28:29], s[2:3], v[6:7] op_sel_hi:[1,0,1]
	s_nop 0
	v_pk_add_f32 v[22:23], v[18:19], v[0:1] op_sel:[0,1] op_sel_hi:[1,0]
	v_pk_add_f32 v[0:1], v[18:19], v[0:1] op_sel:[0,1] op_sel_hi:[1,0] neg_lo:[0,1] neg_hi:[0,1]
	v_pk_mul_f32 v[18:19], v[14:15], s[2:3] op_sel_hi:[1,0]
	v_pk_fma_f32 v[14:15], v[14:15], s[2:3], v[20:21] op_sel_hi:[1,0,1]
	v_mov_b32_e32 v23, v1
	v_pk_add_f32 v[24:25], v[14:15], v[18:19] op_sel:[0,1] op_sel_hi:[1,0]
	v_pk_add_f32 v[14:15], v[14:15], v[18:19] op_sel:[0,1] op_sel_hi:[1,0] neg_lo:[0,1] neg_hi:[0,1]
	v_fmamk_f32 v18, v24, 0x3f6c835e, v22
	v_mov_b32_e32 v25, v15
	v_fmamk_f32 v0, v15, 0x3f6c835e, v1
	v_fmac_f32_e32 v18, 0x3ec3ef15, v15
	v_pk_fma_f32 v[14:15], v[20:21], 2.0, v[24:25] op_sel_hi:[1,0,1] neg_lo:[0,0,1] neg_hi:[0,0,1]
	v_pk_fma_f32 v[6:7], v[6:7], 2.0, v[22:23] op_sel_hi:[1,0,1] neg_lo:[0,0,1] neg_hi:[0,0,1]
	v_pk_mul_f32 v[20:21], v[14:15], s[12:13] op_sel_hi:[1,0]
	v_pk_fma_f32 v[14:15], v[14:15], s[10:11], v[6:7] op_sel_hi:[1,0,1] neg_lo:[1,0,0] neg_hi:[1,0,0]
	v_fmamk_f32 v19, v24, 0xbec3ef15, v0
	v_fma_f32 v0, v22, 2.0, -v18
	v_pk_add_f32 v[22:23], v[14:15], v[20:21] op_sel:[0,1] op_sel_hi:[1,0]
	v_pk_add_f32 v[14:15], v[14:15], v[20:21] op_sel:[0,1] op_sel_hi:[1,0] neg_lo:[0,1] neg_hi:[0,1]
	v_pk_add_f32 v[20:21], v[10:11], v[30:31] op_sel:[0,1] op_sel_hi:[1,0] neg_lo:[0,1] neg_hi:[0,1]
	v_mov_b32_e32 v23, v15
	v_pk_add_f32 v[14:15], v[10:11], v[30:31] op_sel:[0,1] op_sel_hi:[1,0]
	v_pk_fma_f32 v[6:7], v[6:7], 2.0, v[22:23] op_sel_hi:[1,0,1] neg_lo:[0,0,1] neg_hi:[0,0,1]
	v_mov_b32_e32 v15, v21
	v_pk_fma_f32 v[10:11], v[10:11], 2.0, v[14:15] op_sel_hi:[1,0,1] neg_lo:[0,0,1] neg_hi:[0,0,1]
	ds_write2_b64 v57, v[6:7], v[10:11] offset0:33 offset1:44
	v_pk_mul_f32 v[6:7], v[16:17], s[2:3] op_sel_hi:[1,0]
	v_pk_fma_f32 v[10:11], v[16:17], s[2:3], v[4:5] op_sel_hi:[1,0,1]
	v_fma_f32 v1, v1, 2.0, -v19
	v_pk_add_f32 v[16:17], v[10:11], v[6:7] op_sel:[0,1] op_sel_hi:[1,0]
	v_pk_add_f32 v[6:7], v[10:11], v[6:7] op_sel:[0,1] op_sel_hi:[1,0] neg_lo:[0,1] neg_hi:[0,1]
	s_nop 0
	v_mov_b32_e32 v17, v7
	v_pk_fma_f32 v[4:5], v[4:5], 2.0, v[16:17] op_sel_hi:[1,0,1] neg_lo:[0,0,1] neg_hi:[0,0,1]
	ds_write2_b64 v57, v[2:3], v[4:5] offset0:55 offset1:66
	ds_write2_b64 v57, v[0:1], v[8:9] offset0:77 offset1:88
	;; [unrolled: 1-line block ×5, first 2 shown]
	ds_write_b64 v57, v[18:19] offset:1320
.LBB0_11:
	s_or_b64 exec, exec, s[0:1]
	s_waitcnt lgkmcnt(0)
	; wave barrier
	s_waitcnt lgkmcnt(0)
	ds_read_b64 v[0:1], v107
	v_mad_u64_u32 v[6:7], s[0:1], s6, v56, 0
	v_mov_b32_e32 v2, v7
	v_mad_u64_u32 v[2:3], s[0:1], s7, v56, v[2:3]
	v_mov_b32_e32 v7, v2
	s_waitcnt lgkmcnt(0)
	v_mul_f32_e32 v2, v65, v1
	v_fmac_f32_e32 v2, v64, v0
	v_mul_f32_e32 v0, v65, v0
	s_mov_b32 s0, 0x745d1746
	v_fma_f32 v0, v64, v1, -v0
	s_mov_b32 s1, 0x3f7745d1
	v_cvt_f64_f32_e32 v[0:1], v0
	v_cvt_f64_f32_e32 v[2:3], v2
	v_mul_f64 v[0:1], v[0:1], s[0:1]
	v_mad_u64_u32 v[10:11], s[2:3], s4, v106, 0
	v_mul_f64 v[2:3], v[2:3], s[0:1]
	v_cvt_f32_f64_e32 v9, v[0:1]
	v_mov_b32_e32 v0, v11
	v_cvt_f32_f64_e32 v8, v[2:3]
	v_mad_u64_u32 v[12:13], s[2:3], s5, v106, v[0:1]
	ds_read2_b64 v[0:3], v57 offset0:16 offset1:32
	v_mov_b32_e32 v4, s8
	v_mov_b32_e32 v5, s9
	v_lshl_add_u64 v[4:5], v[6:7], 3, v[4:5]
	v_mov_b32_e32 v11, v12
	s_waitcnt lgkmcnt(0)
	v_mul_f32_e32 v6, v63, v1
	v_fmac_f32_e32 v6, v62, v0
	v_mul_f32_e32 v0, v63, v0
	v_fma_f32 v0, v62, v1, -v0
	v_cvt_f64_f32_e32 v[6:7], v6
	v_cvt_f64_f32_e32 v[0:1], v0
	v_mul_f64 v[6:7], v[6:7], s[0:1]
	v_mul_f64 v[0:1], v[0:1], s[0:1]
	v_cvt_f32_f64_e32 v6, v[6:7]
	v_cvt_f32_f64_e32 v7, v[0:1]
	v_mul_f32_e32 v0, v61, v3
	v_fmac_f32_e32 v0, v60, v2
	v_lshl_add_u64 v[4:5], v[10:11], 3, v[4:5]
	s_lshl_b64 s[2:3], s[4:5], 7
	v_cvt_f64_f32_e32 v[0:1], v0
	global_store_dwordx2 v[4:5], v[8:9], off
	v_lshl_add_u64 v[4:5], v[4:5], 0, s[2:3]
	v_mul_f64 v[0:1], v[0:1], s[0:1]
	global_store_dwordx2 v[4:5], v[6:7], off
	v_cvt_f32_f64_e32 v6, v[0:1]
	v_mul_f32_e32 v0, v61, v2
	v_fma_f32 v0, v60, v3, -v0
	v_cvt_f64_f32_e32 v[8:9], v0
	ds_read2_b64 v[0:3], v57 offset0:48 offset1:64
	v_mul_f64 v[8:9], v[8:9], s[0:1]
	v_cvt_f32_f64_e32 v7, v[8:9]
	v_lshl_add_u64 v[4:5], v[4:5], 0, s[2:3]
	global_store_dwordx2 v[4:5], v[6:7], off
	s_waitcnt lgkmcnt(0)
	v_mul_f32_e32 v6, v59, v1
	v_fmac_f32_e32 v6, v58, v0
	v_mul_f32_e32 v0, v59, v0
	v_fma_f32 v0, v58, v1, -v0
	v_cvt_f64_f32_e32 v[6:7], v6
	v_cvt_f64_f32_e32 v[0:1], v0
	v_mul_f64 v[6:7], v[6:7], s[0:1]
	v_mul_f64 v[0:1], v[0:1], s[0:1]
	v_cvt_f32_f64_e32 v6, v[6:7]
	v_cvt_f32_f64_e32 v7, v[0:1]
	v_mul_f32_e32 v0, v55, v3
	v_fmac_f32_e32 v0, v54, v2
	v_cvt_f64_f32_e32 v[0:1], v0
	v_lshl_add_u64 v[4:5], v[4:5], 0, s[2:3]
	v_mul_f64 v[0:1], v[0:1], s[0:1]
	global_store_dwordx2 v[4:5], v[6:7], off
	v_cvt_f32_f64_e32 v6, v[0:1]
	v_mul_f32_e32 v0, v55, v2
	v_fma_f32 v0, v54, v3, -v0
	v_cvt_f64_f32_e32 v[8:9], v0
	ds_read2_b64 v[0:3], v57 offset0:80 offset1:96
	v_mul_f64 v[8:9], v[8:9], s[0:1]
	v_cvt_f32_f64_e32 v7, v[8:9]
	v_lshl_add_u64 v[4:5], v[4:5], 0, s[2:3]
	global_store_dwordx2 v[4:5], v[6:7], off
	s_waitcnt lgkmcnt(0)
	v_mul_f32_e32 v6, v53, v1
	v_fmac_f32_e32 v6, v52, v0
	v_mul_f32_e32 v0, v53, v0
	v_fma_f32 v0, v52, v1, -v0
	v_cvt_f64_f32_e32 v[6:7], v6
	v_cvt_f64_f32_e32 v[0:1], v0
	v_mul_f64 v[6:7], v[6:7], s[0:1]
	v_mul_f64 v[0:1], v[0:1], s[0:1]
	v_cvt_f32_f64_e32 v6, v[6:7]
	v_cvt_f32_f64_e32 v7, v[0:1]
	v_mul_f32_e32 v0, v51, v3
	v_fmac_f32_e32 v0, v50, v2
	v_cvt_f64_f32_e32 v[0:1], v0
	;; [unrolled: 26-line block ×3, first 2 shown]
	v_lshl_add_u64 v[4:5], v[4:5], 0, s[2:3]
	v_mul_f64 v[0:1], v[0:1], s[0:1]
	global_store_dwordx2 v[4:5], v[6:7], off
	v_cvt_f32_f64_e32 v6, v[0:1]
	v_mul_f32_e32 v0, v47, v2
	v_fma_f32 v0, v46, v3, -v0
	v_cvt_f64_f32_e32 v[8:9], v0
	ds_read2_b64 v[0:3], v57 offset0:144 offset1:160
	v_mul_f64 v[8:9], v[8:9], s[0:1]
	v_cvt_f32_f64_e32 v7, v[8:9]
	v_lshl_add_u64 v[4:5], v[4:5], 0, s[2:3]
	global_store_dwordx2 v[4:5], v[6:7], off
	s_waitcnt lgkmcnt(0)
	v_mul_f32_e32 v6, v45, v1
	v_fmac_f32_e32 v6, v44, v0
	v_mul_f32_e32 v0, v45, v0
	v_fma_f32 v0, v44, v1, -v0
	v_cvt_f64_f32_e32 v[6:7], v6
	v_cvt_f64_f32_e32 v[0:1], v0
	v_mul_f64 v[6:7], v[6:7], s[0:1]
	v_mul_f64 v[0:1], v[0:1], s[0:1]
	v_cvt_f32_f64_e32 v6, v[6:7]
	v_cvt_f32_f64_e32 v7, v[0:1]
	v_lshl_add_u64 v[0:1], v[4:5], 0, s[2:3]
	v_mul_f32_e32 v4, v43, v3
	v_fmac_f32_e32 v4, v42, v2
	v_mul_f32_e32 v2, v43, v2
	v_fma_f32 v2, v42, v3, -v2
	v_cvt_f64_f32_e32 v[4:5], v4
	v_cvt_f64_f32_e32 v[2:3], v2
	v_mul_f64 v[4:5], v[4:5], s[0:1]
	v_mul_f64 v[2:3], v[2:3], s[0:1]
	global_store_dwordx2 v[0:1], v[6:7], off
	v_cvt_f32_f64_e32 v4, v[4:5]
	v_cvt_f32_f64_e32 v5, v[2:3]
	v_lshl_add_u64 v[0:1], v[0:1], 0, s[2:3]
	global_store_dwordx2 v[0:1], v[4:5], off
.LBB0_12:
	s_endpgm
	.section	.rodata,"a",@progbits
	.p2align	6, 0x0
	.amdhsa_kernel bluestein_single_back_len176_dim1_sp_op_CI_CI
		.amdhsa_group_segment_fixed_size 5632
		.amdhsa_private_segment_fixed_size 0
		.amdhsa_kernarg_size 104
		.amdhsa_user_sgpr_count 2
		.amdhsa_user_sgpr_dispatch_ptr 0
		.amdhsa_user_sgpr_queue_ptr 0
		.amdhsa_user_sgpr_kernarg_segment_ptr 1
		.amdhsa_user_sgpr_dispatch_id 0
		.amdhsa_user_sgpr_kernarg_preload_length 0
		.amdhsa_user_sgpr_kernarg_preload_offset 0
		.amdhsa_user_sgpr_private_segment_size 0
		.amdhsa_uses_dynamic_stack 0
		.amdhsa_enable_private_segment 0
		.amdhsa_system_sgpr_workgroup_id_x 1
		.amdhsa_system_sgpr_workgroup_id_y 0
		.amdhsa_system_sgpr_workgroup_id_z 0
		.amdhsa_system_sgpr_workgroup_info 0
		.amdhsa_system_vgpr_workitem_id 0
		.amdhsa_next_free_vgpr 138
		.amdhsa_next_free_sgpr 40
		.amdhsa_accum_offset 140
		.amdhsa_reserve_vcc 1
		.amdhsa_float_round_mode_32 0
		.amdhsa_float_round_mode_16_64 0
		.amdhsa_float_denorm_mode_32 3
		.amdhsa_float_denorm_mode_16_64 3
		.amdhsa_dx10_clamp 1
		.amdhsa_ieee_mode 1
		.amdhsa_fp16_overflow 0
		.amdhsa_tg_split 0
		.amdhsa_exception_fp_ieee_invalid_op 0
		.amdhsa_exception_fp_denorm_src 0
		.amdhsa_exception_fp_ieee_div_zero 0
		.amdhsa_exception_fp_ieee_overflow 0
		.amdhsa_exception_fp_ieee_underflow 0
		.amdhsa_exception_fp_ieee_inexact 0
		.amdhsa_exception_int_div_zero 0
	.end_amdhsa_kernel
	.text
.Lfunc_end0:
	.size	bluestein_single_back_len176_dim1_sp_op_CI_CI, .Lfunc_end0-bluestein_single_back_len176_dim1_sp_op_CI_CI
                                        ; -- End function
	.section	.AMDGPU.csdata,"",@progbits
; Kernel info:
; codeLenInByte = 9928
; NumSgprs: 46
; NumVgprs: 138
; NumAgprs: 0
; TotalNumVgprs: 138
; ScratchSize: 0
; MemoryBound: 0
; FloatMode: 240
; IeeeMode: 1
; LDSByteSize: 5632 bytes/workgroup (compile time only)
; SGPRBlocks: 5
; VGPRBlocks: 17
; NumSGPRsForWavesPerEU: 46
; NumVGPRsForWavesPerEU: 138
; AccumOffset: 140
; Occupancy: 3
; WaveLimiterHint : 1
; COMPUTE_PGM_RSRC2:SCRATCH_EN: 0
; COMPUTE_PGM_RSRC2:USER_SGPR: 2
; COMPUTE_PGM_RSRC2:TRAP_HANDLER: 0
; COMPUTE_PGM_RSRC2:TGID_X_EN: 1
; COMPUTE_PGM_RSRC2:TGID_Y_EN: 0
; COMPUTE_PGM_RSRC2:TGID_Z_EN: 0
; COMPUTE_PGM_RSRC2:TIDIG_COMP_CNT: 0
; COMPUTE_PGM_RSRC3_GFX90A:ACCUM_OFFSET: 34
; COMPUTE_PGM_RSRC3_GFX90A:TG_SPLIT: 0
	.text
	.p2alignl 6, 3212836864
	.fill 256, 4, 3212836864
	.type	__hip_cuid_12ea7dbdcc5d110d,@object ; @__hip_cuid_12ea7dbdcc5d110d
	.section	.bss,"aw",@nobits
	.globl	__hip_cuid_12ea7dbdcc5d110d
__hip_cuid_12ea7dbdcc5d110d:
	.byte	0                               ; 0x0
	.size	__hip_cuid_12ea7dbdcc5d110d, 1

	.ident	"AMD clang version 19.0.0git (https://github.com/RadeonOpenCompute/llvm-project roc-6.4.0 25133 c7fe45cf4b819c5991fe208aaa96edf142730f1d)"
	.section	".note.GNU-stack","",@progbits
	.addrsig
	.addrsig_sym __hip_cuid_12ea7dbdcc5d110d
	.amdgpu_metadata
---
amdhsa.kernels:
  - .agpr_count:     0
    .args:
      - .actual_access:  read_only
        .address_space:  global
        .offset:         0
        .size:           8
        .value_kind:     global_buffer
      - .actual_access:  read_only
        .address_space:  global
        .offset:         8
        .size:           8
        .value_kind:     global_buffer
      - .actual_access:  read_only
        .address_space:  global
        .offset:         16
        .size:           8
        .value_kind:     global_buffer
      - .actual_access:  read_only
        .address_space:  global
        .offset:         24
        .size:           8
        .value_kind:     global_buffer
      - .actual_access:  read_only
        .address_space:  global
        .offset:         32
        .size:           8
        .value_kind:     global_buffer
      - .offset:         40
        .size:           8
        .value_kind:     by_value
      - .address_space:  global
        .offset:         48
        .size:           8
        .value_kind:     global_buffer
      - .address_space:  global
        .offset:         56
        .size:           8
        .value_kind:     global_buffer
      - .address_space:  global
        .offset:         64
        .size:           8
        .value_kind:     global_buffer
      - .address_space:  global
        .offset:         72
        .size:           8
        .value_kind:     global_buffer
      - .offset:         80
        .size:           4
        .value_kind:     by_value
      - .address_space:  global
        .offset:         88
        .size:           8
        .value_kind:     global_buffer
      - .address_space:  global
        .offset:         96
        .size:           8
        .value_kind:     global_buffer
    .group_segment_fixed_size: 5632
    .kernarg_segment_align: 8
    .kernarg_segment_size: 104
    .language:       OpenCL C
    .language_version:
      - 2
      - 0
    .max_flat_workgroup_size: 64
    .name:           bluestein_single_back_len176_dim1_sp_op_CI_CI
    .private_segment_fixed_size: 0
    .sgpr_count:     46
    .sgpr_spill_count: 0
    .symbol:         bluestein_single_back_len176_dim1_sp_op_CI_CI.kd
    .uniform_work_group_size: 1
    .uses_dynamic_stack: false
    .vgpr_count:     138
    .vgpr_spill_count: 0
    .wavefront_size: 64
amdhsa.target:   amdgcn-amd-amdhsa--gfx950
amdhsa.version:
  - 1
  - 2
...

	.end_amdgpu_metadata
